;; amdgpu-corpus repo=ROCm/rocFFT kind=compiled arch=gfx1201 opt=O3
	.text
	.amdgcn_target "amdgcn-amd-amdhsa--gfx1201"
	.amdhsa_code_object_version 6
	.protected	bluestein_single_fwd_len408_dim1_dp_op_CI_CI ; -- Begin function bluestein_single_fwd_len408_dim1_dp_op_CI_CI
	.globl	bluestein_single_fwd_len408_dim1_dp_op_CI_CI
	.p2align	8
	.type	bluestein_single_fwd_len408_dim1_dp_op_CI_CI,@function
bluestein_single_fwd_len408_dim1_dp_op_CI_CI: ; @bluestein_single_fwd_len408_dim1_dp_op_CI_CI
; %bb.0:
	s_load_b128 s[12:15], s[0:1], 0x28
	v_mul_u32_u24_e32 v1, 0xf10, v0
	s_mov_b32 s2, exec_lo
	s_delay_alu instid0(VALU_DEP_1) | instskip(NEXT) | instid1(VALU_DEP_1)
	v_lshrrev_b32_e32 v1, 16, v1
	v_mad_co_u64_u32 v[140:141], null, ttmp9, 3, v[1:2]
	v_mov_b32_e32 v141, 0
                                        ; kill: def $vgpr2 killed $sgpr0 killed $exec
	s_wait_kmcnt 0x0
	s_delay_alu instid0(VALU_DEP_1)
	v_cmpx_gt_u64_e64 s[12:13], v[140:141]
	s_cbranch_execz .LBB0_15
; %bb.1:
	s_clause 0x1
	s_load_b128 s[4:7], s[0:1], 0x18
	s_load_b64 s[12:13], s[0:1], 0x0
	v_mul_lo_u16 v1, v1, 17
	v_mul_hi_u32 v71, 0xaaaaaaab, v140
	s_delay_alu instid0(VALU_DEP_2) | instskip(NEXT) | instid1(VALU_DEP_2)
	v_sub_nc_u16 v2, v0, v1
	v_lshrrev_b32_e32 v139, 1, v71
	s_delay_alu instid0(VALU_DEP_2) | instskip(NEXT) | instid1(VALU_DEP_2)
	v_and_b32_e32 v214, 0xffff, v2
	v_lshl_add_u32 v139, v139, 1, v139
	s_delay_alu instid0(VALU_DEP_2) | instskip(SKIP_3) | instid1(VALU_DEP_1)
	v_or_b32_e32 v18, 0x180, v214
	s_wait_kmcnt 0x0
	s_load_b128 s[8:11], s[4:5], 0x0
	s_wait_kmcnt 0x0
	v_mad_co_u64_u32 v[43:44], null, s8, v18, 0
	v_mad_co_u64_u32 v[0:1], null, s10, v140, 0
	s_mul_u64 s[2:3], s[8:9], 24
	s_mul_u64 s[4:5], s[8:9], 0x300
	s_lshl_b64 s[16:17], s[2:3], 4
	s_delay_alu instid0(VALU_DEP_2) | instskip(SKIP_4) | instid1(VALU_DEP_4)
	v_mov_b32_e32 v11, v44
	v_or_b32_e32 v15, 0x60, v214
	v_mad_co_u64_u32 v[3:4], null, s8, v214, 0
	v_or_b32_e32 v16, 0xc0, v214
	v_mad_co_u64_u32 v[12:13], null, s11, v140, v[1:2]
	v_mad_co_u64_u32 v[5:6], null, s8, v15, 0
	s_delay_alu instid0(VALU_DEP_3) | instskip(SKIP_2) | instid1(VALU_DEP_3)
	v_mad_co_u64_u32 v[7:8], null, s8, v16, 0
	v_or_b32_e32 v17, 0x120, v214
	s_load_b64 s[10:11], s[0:1], 0x38
	v_mad_co_u64_u32 v[13:14], null, s9, v214, v[4:5]
	v_lshlrev_b32_e32 v167, 4, v214
	s_delay_alu instid0(VALU_DEP_3) | instskip(NEXT) | instid1(VALU_DEP_3)
	v_mad_co_u64_u32 v[9:10], null, s8, v17, 0
	v_mov_b32_e32 v4, v13
	s_clause 0x7
	global_load_b128 v[208:211], v167, s[12:13]
	global_load_b128 v[204:207], v167, s[12:13] offset:384
	global_load_b128 v[200:203], v167, s[12:13] offset:768
	;; [unrolled: 1-line block ×7, first 2 shown]
	s_clause 0x3
	scratch_store_b32 off, v15, off offset:132
	scratch_store_b32 off, v16, off offset:136
	;; [unrolled: 1-line block ×4, first 2 shown]
	v_mad_co_u64_u32 v[14:15], null, s9, v15, v[6:7]
	v_mov_b32_e32 v1, v12
	v_lshlrev_b64_e32 v[3:4], 4, v[3:4]
	v_mad_co_u64_u32 v[15:16], null, s9, v16, v[8:9]
	v_mad_co_u64_u32 v[16:17], null, s9, v17, v[10:11]
	v_mov_b32_e32 v6, v14
	v_lshlrev_b64_e32 v[0:1], 4, v[0:1]
	v_mad_co_u64_u32 v[17:18], null, s9, v18, v[11:12]
	v_mov_b32_e32 v8, v15
	v_mov_b32_e32 v10, v16
	s_delay_alu instid0(VALU_DEP_4) | instskip(SKIP_2) | instid1(VALU_DEP_3)
	v_add_co_u32 v49, vcc_lo, s14, v0
	v_add_co_ci_u32_e32 v50, vcc_lo, s15, v1, vcc_lo
	v_lshlrev_b64_e32 v[0:1], 4, v[5:6]
	v_add_co_u32 v11, vcc_lo, v49, v3
	s_wait_alu 0xfffd
	s_delay_alu instid0(VALU_DEP_3) | instskip(SKIP_1) | instid1(VALU_DEP_3)
	v_add_co_ci_u32_e32 v12, vcc_lo, v50, v4, vcc_lo
	v_lshlrev_b64_e32 v[3:4], 4, v[7:8]
	v_add_co_u32 v13, vcc_lo, v11, s16
	s_wait_alu 0xfffd
	s_delay_alu instid0(VALU_DEP_3) | instskip(SKIP_1) | instid1(VALU_DEP_3)
	v_add_co_ci_u32_e32 v14, vcc_lo, s17, v12, vcc_lo
	v_mov_b32_e32 v44, v17
	v_add_co_u32 v15, vcc_lo, v13, s16
	s_wait_alu 0xfffd
	s_delay_alu instid0(VALU_DEP_3)
	v_add_co_ci_u32_e32 v16, vcc_lo, s17, v14, vcc_lo
	v_add_co_u32 v0, vcc_lo, v49, v0
	s_wait_alu 0xfffd
	v_add_co_ci_u32_e32 v1, vcc_lo, v50, v1, vcc_lo
	v_add_co_u32 v19, vcc_lo, v15, s16
	s_wait_alu 0xfffd
	;; [unrolled: 3-line block ×4, first 2 shown]
	v_add_co_ci_u32_e32 v28, vcc_lo, s5, v20, vcc_lo
	v_lshlrev_b64_e32 v[45:46], 4, v[9:10]
	s_delay_alu instid0(VALU_DEP_3) | instskip(SKIP_1) | instid1(VALU_DEP_3)
	v_add_co_u32 v31, vcc_lo, v27, s16
	s_wait_alu 0xfffd
	v_add_co_ci_u32_e32 v32, vcc_lo, s17, v28, vcc_lo
	global_load_b128 v[3:6], v[3:4], off
	v_add_co_u32 v35, vcc_lo, v31, s16
	s_wait_alu 0xfffd
	v_add_co_ci_u32_e32 v36, vcc_lo, s17, v32, vcc_lo
	s_clause 0x1
	global_load_b128 v[7:10], v[11:12], off
	global_load_b128 v[11:14], v[13:14], off
	v_add_co_u32 v47, vcc_lo, v35, s4
	s_wait_alu 0xfffd
	v_add_co_ci_u32_e32 v48, vcc_lo, s5, v36, vcc_lo
	s_clause 0x3
	global_load_b128 v[15:18], v[15:16], off
	global_load_b128 v[19:22], v[19:20], off
	;; [unrolled: 1-line block ×7, first 2 shown]
	v_add_co_u32 v0, vcc_lo, v47, s16
	v_lshlrev_b64_e32 v[43:44], 4, v[43:44]
	s_wait_alu 0xfffd
	v_add_co_ci_u32_e32 v1, vcc_lo, s17, v48, vcc_lo
	v_add_co_u32 v45, vcc_lo, v49, v45
	s_wait_alu 0xfffd
	v_add_co_ci_u32_e32 v46, vcc_lo, v50, v46, vcc_lo
	v_add_co_u32 v47, vcc_lo, v49, v43
	;; [unrolled: 3-line block ×3, first 2 shown]
	s_wait_alu 0xfffd
	v_add_co_ci_u32_e32 v60, vcc_lo, s17, v1, vcc_lo
	global_load_b128 v[172:175], v167, s[12:13] offset:3072
	global_load_b128 v[43:46], v[45:46], off
	global_load_b128 v[153:156], v167, s[12:13] offset:4608
	global_load_b128 v[47:50], v[47:48], off
	s_clause 0x1
	global_load_b128 v[141:144], v167, s[12:13] offset:6144
	global_load_b128 v[176:179], v167, s[12:13] offset:3456
	global_load_b128 v[51:54], v[0:1], off
	global_load_b128 v[55:58], v[59:60], off
	v_add_co_u32 v0, vcc_lo, v59, s4
	s_wait_alu 0xfffd
	v_add_co_ci_u32_e32 v1, vcc_lo, s5, v60, vcc_lo
	s_clause 0x1
	global_load_b128 v[180:183], v167, s[12:13] offset:3840
	global_load_b128 v[168:171], v167, s[12:13] offset:4224
	v_add_co_u32 v63, vcc_lo, v0, s16
	s_wait_alu 0xfffd
	v_add_co_ci_u32_e32 v64, vcc_lo, s17, v1, vcc_lo
	global_load_b128 v[59:62], v[0:1], off
	v_add_co_u32 v0, vcc_lo, v63, s16
	s_wait_alu 0xfffd
	v_add_co_ci_u32_e32 v1, vcc_lo, s17, v64, vcc_lo
	global_load_b128 v[161:164], v167, s[12:13] offset:4992
	global_load_b128 v[63:66], v[63:64], off
	s_clause 0x1
	global_load_b128 v[157:160], v167, s[12:13] offset:5376
	global_load_b128 v[149:152], v167, s[12:13] offset:5760
	global_load_b128 v[67:70], v[0:1], off
	s_load_b128 s[4:7], s[6:7], 0x0
	v_cmp_gt_u16_e32 vcc_lo, 7, v2
	s_wait_loadcnt 0x21
	scratch_store_b128 off, v[208:211], off offset:404 ; 16-byte Folded Spill
	s_wait_loadcnt 0x20
	scratch_store_b128 off, v[204:207], off offset:388 ; 16-byte Folded Spill
	;; [unrolled: 2-line block ×7, first 2 shown]
	s_wait_loadcnt 0x18
	v_mul_f64_e32 v[71:72], v[9:10], v[210:211]
	v_mul_f64_e32 v[73:74], v[7:8], v[210:211]
	s_wait_loadcnt 0x17
	v_mul_f64_e32 v[89:90], v[13:14], v[206:207]
	v_mul_f64_e32 v[91:92], v[11:12], v[206:207]
	;; [unrolled: 3-line block ×3, first 2 shown]
	v_mul_f64_e32 v[95:96], v[15:16], v[202:203]
	v_mul_f64_e32 v[97:98], v[21:22], v[198:199]
	;; [unrolled: 1-line block ×4, first 2 shown]
	s_wait_loadcnt 0x13
	v_mul_f64_e32 v[101:102], v[29:30], v[186:187]
	v_mul_f64_e32 v[103:104], v[27:28], v[186:187]
	s_wait_loadcnt 0x12
	v_mul_f64_e32 v[105:106], v[33:34], v[190:191]
	v_mul_f64_e32 v[107:108], v[31:32], v[190:191]
	;; [unrolled: 3-line block ×5, first 2 shown]
	s_wait_loadcnt 0xb
	v_mul_f64_e32 v[87:88], v[49:50], v[143:144]
	s_wait_loadcnt 0xa
	v_mul_f64_e32 v[113:114], v[41:42], v[178:179]
	v_mul_f64_e32 v[115:116], v[39:40], v[178:179]
	v_mul_f64_e32 v[137:138], v[47:48], v[143:144]
	s_clause 0x2
	scratch_store_b128 off, v[172:175], off offset:260
	scratch_store_b128 off, v[153:156], off offset:196
	;; [unrolled: 1-line block ×3, first 2 shown]
	s_wait_loadcnt 0x7
	scratch_store_b128 off, v[180:183], off offset:292 ; 16-byte Folded Spill
	v_mul_f64_e32 v[117:118], v[53:54], v[182:183]
	v_mul_f64_e32 v[119:120], v[51:52], v[182:183]
	s_wait_loadcnt 0x6
	v_mul_f64_e32 v[121:122], v[57:58], v[170:171]
	v_mul_f64_e32 v[123:124], v[55:56], v[170:171]
	scratch_store_b128 off, v[168:171], off offset:244 ; 16-byte Folded Spill
	s_wait_loadcnt 0x4
	v_mul_f64_e32 v[125:126], v[61:62], v[163:164]
	v_mul_f64_e32 v[127:128], v[59:60], v[163:164]
	s_wait_loadcnt 0x2
	v_mul_f64_e32 v[129:130], v[65:66], v[159:160]
	v_mul_f64_e32 v[131:132], v[63:64], v[159:160]
	;; [unrolled: 3-line block ×3, first 2 shown]
	v_fma_f64 v[7:8], v[7:8], v[208:209], v[71:72]
	v_fma_f64 v[9:10], v[9:10], v[208:209], -v[73:74]
	v_fma_f64 v[11:12], v[11:12], v[204:205], v[89:90]
	v_fma_f64 v[13:14], v[13:14], v[204:205], -v[91:92]
	;; [unrolled: 2-line block ×9, first 2 shown]
	v_fma_f64 v[43:44], v[43:44], v[153:154], v[83:84]
	v_fma_f64 v[39:40], v[39:40], v[176:177], v[113:114]
	v_fma_f64 v[41:42], v[41:42], v[176:177], -v[115:116]
	v_fma_f64 v[45:46], v[45:46], v[153:154], -v[85:86]
	v_mov_b32_e32 v71, v140
	v_fma_f64 v[47:48], v[47:48], v[141:142], v[87:88]
	v_fma_f64 v[49:50], v[49:50], v[141:142], -v[137:138]
	scratch_store_b128 off, v[145:148], off offset:164 ; 16-byte Folded Spill
	v_fma_f64 v[51:52], v[51:52], v[180:181], v[117:118]
	scratch_store_b64 off, v[71:72], off offset:124 ; 8-byte Folded Spill
	v_fma_f64 v[53:54], v[53:54], v[180:181], -v[119:120]
	v_fma_f64 v[55:56], v[55:56], v[168:169], v[121:122]
	v_fma_f64 v[57:58], v[57:58], v[168:169], -v[123:124]
	v_sub_nc_u32_e32 v71, v140, v139
	v_fma_f64 v[59:60], v[59:60], v[161:162], v[125:126]
	v_fma_f64 v[61:62], v[61:62], v[161:162], -v[127:128]
	v_fma_f64 v[63:64], v[63:64], v[157:158], v[129:130]
	v_fma_f64 v[65:66], v[65:66], v[157:158], -v[131:132]
	;; [unrolled: 2-line block ×3, first 2 shown]
	v_mul_u32_u24_e32 v227, 0x198, v71
	v_add_co_u32 v71, s2, s12, v167
	s_clause 0x1
	scratch_store_b128 off, v[161:164], off offset:228
	scratch_store_b128 off, v[157:160], off offset:212
	v_lshlrev_b32_e32 v72, 4, v227
	scratch_store_b128 off, v[149:152], off offset:180 ; 16-byte Folded Spill
	v_add_nc_u32_e32 v164, v167, v72
	v_add_co_ci_u32_e64 v72, null, s13, 0, s2
	s_clause 0x1
	scratch_store_b128 off, v[141:144], off offset:148
	scratch_store_b64 off, v[71:72], off
	ds_store_b128 v164, v[7:10]
	ds_store_b128 v164, v[11:14] offset:384
	ds_store_b128 v164, v[15:18] offset:768
	;; [unrolled: 1-line block ×16, first 2 shown]
	s_and_saveexec_b32 s3, vcc_lo
	s_cbranch_execz .LBB0_3
; %bb.2:
	scratch_load_b64 v[128:129], off, off   ; 8-byte Folded Reload
	v_mad_co_u64_u32 v[24:25], null, 0xffffea90, s8, v[0:1]
	s_mul_i32 s2, s9, 0xffffea90
	s_wait_loadcnt 0x0
	s_clause 0x1
	global_load_b128 v[0:3], v[128:129], off offset:272
	global_load_b128 v[4:7], v[128:129], off offset:656
	s_wait_alu 0xfffe
	s_sub_co_i32 s2, s2, s8
	s_clause 0x1
	global_load_b128 v[8:11], v[128:129], off offset:1040
	global_load_b128 v[12:15], v[128:129], off offset:1424
	s_wait_alu 0xfffe
	v_add_nc_u32_e32 v25, s2, v25
	v_add_co_u32 v28, s2, v24, s16
	s_clause 0x1
	global_load_b128 v[16:19], v[128:129], off offset:1808
	global_load_b128 v[20:23], v[128:129], off offset:2192
	s_wait_alu 0xf1ff
	v_add_co_ci_u32_e64 v29, s2, s17, v25, s2
	v_add_co_u32 v32, s2, v28, s16
	global_load_b128 v[24:27], v[24:25], off
	s_wait_alu 0xf1ff
	v_add_co_ci_u32_e64 v33, s2, s17, v29, s2
	v_add_co_u32 v36, s2, v32, s16
	global_load_b128 v[28:31], v[28:29], off
	;; [unrolled: 4-line block ×3, first 2 shown]
	s_wait_alu 0xf1ff
	v_add_co_ci_u32_e64 v41, s2, s17, v37, s2
	v_add_co_u32 v44, s2, v40, s16
	s_wait_alu 0xf1ff
	s_delay_alu instid0(VALU_DEP_2) | instskip(NEXT) | instid1(VALU_DEP_2)
	v_add_co_ci_u32_e64 v45, s2, s17, v41, s2
	v_add_co_u32 v48, s2, v44, s16
	s_wait_alu 0xf1ff
	s_delay_alu instid0(VALU_DEP_2) | instskip(NEXT) | instid1(VALU_DEP_2)
	;; [unrolled: 4-line block ×3, first 2 shown]
	v_add_co_ci_u32_e64 v57, s2, s17, v49, s2
	v_add_co_u32 v64, s2, v56, s16
	global_load_b128 v[36:39], v[36:37], off
	global_load_b128 v[40:43], v[40:41], off
	;; [unrolled: 1-line block ×5, first 2 shown]
	s_wait_alu 0xf1ff
	v_add_co_ci_u32_e64 v65, s2, s17, v57, s2
	v_add_co_u32 v68, s2, v64, s16
	s_clause 0x1
	global_load_b128 v[56:59], v[128:129], off offset:2576
	global_load_b128 v[60:63], v[128:129], off offset:2960
	s_wait_alu 0xf1ff
	v_add_co_ci_u32_e64 v69, s2, s17, v65, s2
	v_add_co_u32 v80, s2, v68, s16
	global_load_b128 v[64:67], v[64:65], off
	s_wait_alu 0xf1ff
	v_add_co_ci_u32_e64 v81, s2, s17, v69, s2
	v_add_co_u32 v84, s2, v80, s16
	global_load_b128 v[68:71], v[68:69], off
	s_wait_alu 0xf1ff
	v_add_co_ci_u32_e64 v85, s2, s17, v81, s2
	v_add_co_u32 v96, s2, v84, s16
	s_clause 0x1
	global_load_b128 v[72:75], v[128:129], off offset:3344
	global_load_b128 v[76:79], v[128:129], off offset:3728
	s_wait_alu 0xf1ff
	v_add_co_ci_u32_e64 v97, s2, s17, v85, s2
	v_add_co_u32 v104, s2, v96, s16
	global_load_b128 v[80:83], v[80:81], off
	s_wait_alu 0xf1ff
	v_add_co_ci_u32_e64 v105, s2, s17, v97, s2
	v_add_co_u32 v112, s2, v104, s16
	global_load_b128 v[84:87], v[84:85], off
	s_clause 0x1
	global_load_b128 v[88:91], v[128:129], off offset:4112
	global_load_b128 v[92:95], v[128:129], off offset:4496
	global_load_b128 v[96:99], v[96:97], off
	global_load_b128 v[100:103], v[104:105], off
	s_wait_alu 0xf1ff
	v_add_co_ci_u32_e64 v113, s2, s17, v105, s2
	v_add_co_u32 v120, s2, v112, s16
	s_clause 0x1
	global_load_b128 v[104:107], v[128:129], off offset:4880
	global_load_b128 v[108:111], v[128:129], off offset:5264
	s_wait_alu 0xf1ff
	v_add_co_ci_u32_e64 v121, s2, s17, v113, s2
	v_add_co_u32 v132, s2, v120, s16
	global_load_b128 v[112:115], v[112:113], off
	s_wait_alu 0xf1ff
	v_add_co_ci_u32_e64 v133, s2, s17, v121, s2
	global_load_b128 v[116:119], v[128:129], off offset:5648
	global_load_b128 v[120:123], v[120:121], off
	s_clause 0x1
	global_load_b128 v[124:127], v[128:129], off offset:6032
	global_load_b128 v[128:131], v[128:129], off offset:6416
	global_load_b128 v[132:135], v[132:133], off
	s_wait_loadcnt 0x1b
	v_mul_f64_e32 v[136:137], v[26:27], v[2:3]
	v_mul_f64_e32 v[2:3], v[24:25], v[2:3]
	s_wait_loadcnt 0x1a
	v_mul_f64_e32 v[138:139], v[30:31], v[6:7]
	v_mul_f64_e32 v[6:7], v[28:29], v[6:7]
	;; [unrolled: 3-line block ×8, first 2 shown]
	v_fma_f64 v[22:23], v[24:25], v[0:1], v[136:137]
	v_fma_f64 v[24:25], v[26:27], v[0:1], -v[2:3]
	v_fma_f64 v[0:1], v[28:29], v[4:5], v[138:139]
	v_fma_f64 v[2:3], v[30:31], v[4:5], -v[6:7]
	v_fma_f64 v[4:5], v[32:33], v[8:9], v[140:141]
	s_wait_loadcnt 0xf
	v_mul_f64_e32 v[154:155], v[66:67], v[74:75]
	v_mul_f64_e32 v[74:75], v[64:65], v[74:75]
	s_wait_loadcnt 0xe
	v_mul_f64_e32 v[156:157], v[70:71], v[78:79]
	v_mul_f64_e32 v[78:79], v[68:69], v[78:79]
	v_fma_f64 v[6:7], v[34:35], v[8:9], -v[10:11]
	s_wait_loadcnt 0xb
	v_mul_f64_e32 v[158:159], v[82:83], v[90:91]
	v_mul_f64_e32 v[90:91], v[80:81], v[90:91]
	s_wait_loadcnt 0xa
	v_mul_f64_e32 v[160:161], v[86:87], v[94:95]
	v_mul_f64_e32 v[94:95], v[84:85], v[94:95]
	;; [unrolled: 3-line block ×4, first 2 shown]
	v_fma_f64 v[8:9], v[36:37], v[12:13], v[142:143]
	v_fma_f64 v[10:11], v[38:39], v[12:13], -v[14:15]
	s_wait_loadcnt 0x4
	v_mul_f64_e32 v[168:169], v[114:115], v[118:119]
	v_mul_f64_e32 v[118:119], v[112:113], v[118:119]
	s_wait_loadcnt 0x2
	v_mul_f64_e32 v[170:171], v[122:123], v[126:127]
	v_mul_f64_e32 v[126:127], v[120:121], v[126:127]
	;; [unrolled: 3-line block ×3, first 2 shown]
	v_fma_f64 v[12:13], v[40:41], v[16:17], v[144:145]
	v_fma_f64 v[14:15], v[42:43], v[16:17], -v[18:19]
	v_fma_f64 v[16:17], v[44:45], v[20:21], v[146:147]
	v_fma_f64 v[18:19], v[46:47], v[20:21], -v[148:149]
	;; [unrolled: 2-line block ×13, first 2 shown]
	ds_store_b128 v164, v[22:25] offset:272
	ds_store_b128 v164, v[0:3] offset:656
	;; [unrolled: 1-line block ×17, first 2 shown]
.LBB0_3:
	s_wait_alu 0xfffe
	s_or_b32 exec_lo, exec_lo, s3
	global_wb scope:SCOPE_SE
	s_wait_storecnt_dscnt 0x0
	s_wait_kmcnt 0x0
	s_barrier_signal -1
	s_barrier_wait -1
	global_inv scope:SCOPE_SE
	ds_load_b128 v[56:59], v164
	ds_load_b128 v[64:67], v164 offset:384
	ds_load_b128 v[52:55], v164 offset:768
	;; [unrolled: 1-line block ×16, first 2 shown]
	s_load_b64 s[0:1], s[0:1], 0x8
                                        ; implicit-def: $vgpr136_vgpr137
                                        ; implicit-def: $vgpr140_vgpr141
                                        ; implicit-def: $vgpr152_vgpr153
                                        ; implicit-def: $vgpr160_vgpr161
                                        ; implicit-def: $vgpr168_vgpr169
                                        ; implicit-def: $vgpr172_vgpr173
                                        ; implicit-def: $vgpr156_vgpr157
                                        ; implicit-def: $vgpr132_vgpr133
                                        ; implicit-def: $vgpr128_vgpr129
                                        ; implicit-def: $vgpr124_vgpr125
                                        ; implicit-def: $vgpr120_vgpr121
                                        ; implicit-def: $vgpr116_vgpr117
                                        ; implicit-def: $vgpr112_vgpr113
                                        ; implicit-def: $vgpr78_vgpr79
                                        ; implicit-def: $vgpr148_vgpr149
                                        ; implicit-def: $vgpr144_vgpr145
                                        ; implicit-def: $vgpr108_vgpr109
	s_and_saveexec_b32 s2, vcc_lo
	s_cbranch_execz .LBB0_5
; %bb.4:
	ds_load_b128 v[108:111], v164 offset:272
	ds_load_b128 v[136:139], v164 offset:656
	ds_load_b128 v[144:147], v164 offset:1040
	ds_load_b128 v[148:151], v164 offset:1424
	ds_load_b128 v[140:143], v164 offset:1808
	ds_load_b128 v[78:81], v164 offset:2192
	ds_load_b128 v[152:155], v164 offset:2576
	ds_load_b128 v[160:163], v164 offset:2960
	ds_load_b128 v[168:171], v164 offset:3344
	ds_load_b128 v[172:175], v164 offset:3728
	ds_load_b128 v[156:159], v164 offset:4112
	ds_load_b128 v[132:135], v164 offset:4496
	ds_load_b128 v[128:131], v164 offset:4880
	ds_load_b128 v[124:127], v164 offset:5264
	ds_load_b128 v[120:123], v164 offset:5648
	ds_load_b128 v[116:119], v164 offset:6032
	ds_load_b128 v[112:115], v164 offset:6416
.LBB0_5:
	s_wait_alu 0xfffe
	s_or_b32 exec_lo, exec_lo, s2
	s_wait_dscnt 0xf
	v_add_f64_e32 v[0:1], v[56:57], v[64:65]
	v_add_f64_e32 v[2:3], v[58:59], v[66:67]
	s_mov_b32 s44, 0x5d8e7cdc
	s_mov_b32 s48, 0x2a9d6da3
	;; [unrolled: 1-line block ×36, first 2 shown]
	s_wait_dscnt 0xe
	v_add_f64_e32 v[0:1], v[0:1], v[52:53]
	v_add_f64_e32 v[2:3], v[2:3], v[54:55]
	s_mov_b32 s35, 0x3feca52d
	s_mov_b32 s34, s54
	;; [unrolled: 1-line block ×12, first 2 shown]
	s_wait_dscnt 0x4
	v_add_f64_e32 v[246:247], v[128:129], v[78:79]
	v_add_f64_e32 v[248:249], v[130:131], v[80:81]
	;; [unrolled: 1-line block ×4, first 2 shown]
	v_add_co_u32 v166, null, v214, 17
	v_mov_b32_e32 v165, v214
	s_delay_alu instid0(VALU_DEP_2) | instskip(SKIP_2) | instid1(VALU_DEP_2)
	v_mul_u32_u24_e32 v218, 17, v166
	v_add_f64_e32 v[0:1], v[0:1], v[44:45]
	v_add_f64_e32 v[2:3], v[2:3], v[46:47]
	;; [unrolled: 1-line block ×3, first 2 shown]
	s_delay_alu instid0(VALU_DEP_2) | instskip(NEXT) | instid1(VALU_DEP_2)
	v_add_f64_e32 v[2:3], v[2:3], v[38:39]
	v_add_f64_e32 v[0:1], v[0:1], v[28:29]
	s_delay_alu instid0(VALU_DEP_2) | instskip(NEXT) | instid1(VALU_DEP_2)
	v_add_f64_e32 v[2:3], v[2:3], v[30:31]
	v_add_f64_e32 v[0:1], v[0:1], v[20:21]
	;; [unrolled: 3-line block ×8, first 2 shown]
	s_delay_alu instid0(VALU_DEP_2) | instskip(SKIP_1) | instid1(VALU_DEP_2)
	v_add_f64_e32 v[2:3], v[2:3], v[34:35]
	s_wait_dscnt 0x3
	v_add_f64_e32 v[0:1], v[0:1], v[40:41]
	s_delay_alu instid0(VALU_DEP_2) | instskip(SKIP_1) | instid1(VALU_DEP_2)
	v_add_f64_e32 v[2:3], v[2:3], v[42:43]
	s_wait_dscnt 0x2
	v_add_f64_e32 v[0:1], v[0:1], v[48:49]
	;; [unrolled: 4-line block ×4, first 2 shown]
	s_delay_alu instid0(VALU_DEP_2)
	v_add_f64_e32 v[2:3], v[2:3], v[70:71]
	scratch_store_b128 off, v[0:3], off offset:420 ; 16-byte Folded Spill
	v_add_f64_e32 v[0:1], v[64:65], v[68:69]
	v_add_f64_e64 v[64:65], v[64:65], -v[68:69]
	v_add_f64_e32 v[2:3], v[66:67], v[70:71]
	v_add_f64_e64 v[66:67], v[66:67], -v[70:71]
	s_delay_alu instid0(VALU_DEP_3)
	v_mul_f64_e32 v[72:73], s[44:45], v[64:65]
	v_mul_f64_e32 v[84:85], s[48:49], v[64:65]
	;; [unrolled: 1-line block ×16, first 2 shown]
	s_wait_alu 0xfffe
	v_fma_f64 v[74:75], v[2:3], s[8:9], v[72:73]
	v_fma_f64 v[72:73], v[2:3], s[8:9], -v[72:73]
	v_fma_f64 v[86:87], v[2:3], s[2:3], v[84:85]
	v_fma_f64 v[84:85], v[2:3], s[2:3], -v[84:85]
	v_fma_f64 v[94:95], v[2:3], s[14:15], v[92:93]
	v_fma_f64 v[92:93], v[2:3], s[14:15], -v[92:93]
	v_fma_f64 v[102:103], v[2:3], s[16:17], v[100:101]
	v_fma_f64 v[100:101], v[2:3], s[16:17], -v[100:101]
	v_fma_f64 v[178:179], v[2:3], s[18:19], v[176:177]
	v_fma_f64 v[176:177], v[2:3], s[18:19], -v[176:177]
	v_fma_f64 v[186:187], v[2:3], s[20:21], v[184:185]
	v_fma_f64 v[184:185], v[2:3], s[20:21], -v[184:185]
	v_fma_f64 v[194:195], v[2:3], s[22:23], v[192:193]
	v_fma_f64 v[192:193], v[2:3], s[22:23], -v[192:193]
	v_fma_f64 v[198:199], v[2:3], s[24:25], v[64:65]
	v_fma_f64 v[2:3], v[2:3], s[24:25], -v[64:65]
	v_fma_f64 v[70:71], v[0:1], s[8:9], -v[68:69]
	v_fma_f64 v[68:69], v[0:1], s[8:9], v[68:69]
	v_fma_f64 v[82:83], v[0:1], s[2:3], -v[76:77]
	v_fma_f64 v[76:77], v[0:1], s[2:3], v[76:77]
	;; [unrolled: 2-line block ×8, first 2 shown]
	v_add_f64_e32 v[74:75], v[58:59], v[74:75]
	v_add_f64_e32 v[72:73], v[58:59], v[72:73]
	;; [unrolled: 1-line block ×17, first 2 shown]
	v_add_f64_e64 v[54:55], v[54:55], -v[62:63]
	v_add_f64_e32 v[70:71], v[56:57], v[70:71]
	v_add_f64_e32 v[68:69], v[56:57], v[68:69]
	;; [unrolled: 1-line block ×17, first 2 shown]
	v_add_f64_e64 v[52:53], v[52:53], -v[60:61]
	v_mul_f64_e32 v[60:61], s[48:49], v[54:55]
	s_delay_alu instid0(VALU_DEP_2) | instskip(NEXT) | instid1(VALU_DEP_2)
	v_mul_f64_e32 v[64:65], s[48:49], v[52:53]
	v_fma_f64 v[62:63], v[56:57], s[2:3], -v[60:61]
	v_fma_f64 v[60:61], v[56:57], s[2:3], v[60:61]
	s_delay_alu instid0(VALU_DEP_3) | instskip(SKIP_1) | instid1(VALU_DEP_4)
	v_fma_f64 v[66:67], v[58:59], s[2:3], v[64:65]
	v_fma_f64 v[64:65], v[58:59], s[2:3], -v[64:65]
	v_add_f64_e32 v[62:63], v[62:63], v[70:71]
	s_delay_alu instid0(VALU_DEP_4) | instskip(SKIP_4) | instid1(VALU_DEP_4)
	v_add_f64_e32 v[60:61], v[60:61], v[68:69]
	v_mul_f64_e32 v[68:69], s[46:47], v[54:55]
	v_add_f64_e32 v[66:67], v[66:67], v[74:75]
	v_add_f64_e32 v[64:65], v[64:65], v[72:73]
	v_mul_f64_e32 v[72:73], s[46:47], v[52:53]
	v_fma_f64 v[70:71], v[56:57], s[16:17], -v[68:69]
	v_fma_f64 v[68:69], v[56:57], s[16:17], v[68:69]
	s_delay_alu instid0(VALU_DEP_3) | instskip(SKIP_1) | instid1(VALU_DEP_4)
	v_fma_f64 v[74:75], v[58:59], s[16:17], v[72:73]
	v_fma_f64 v[72:73], v[58:59], s[16:17], -v[72:73]
	v_add_f64_e32 v[70:71], v[70:71], v[82:83]
	s_delay_alu instid0(VALU_DEP_4) | instskip(SKIP_4) | instid1(VALU_DEP_4)
	v_add_f64_e32 v[68:69], v[68:69], v[76:77]
	v_mul_f64_e32 v[76:77], s[28:29], v[54:55]
	v_add_f64_e32 v[74:75], v[74:75], v[86:87]
	v_add_f64_e32 v[72:73], v[72:73], v[84:85]
	v_mul_f64_e32 v[84:85], s[28:29], v[52:53]
	v_fma_f64 v[82:83], v[56:57], s[20:21], -v[76:77]
	v_fma_f64 v[76:77], v[56:57], s[20:21], v[76:77]
	s_delay_alu instid0(VALU_DEP_3) | instskip(SKIP_1) | instid1(VALU_DEP_4)
	v_fma_f64 v[86:87], v[58:59], s[20:21], v[84:85]
	v_fma_f64 v[84:85], v[58:59], s[20:21], -v[84:85]
	v_add_f64_e32 v[82:83], v[82:83], v[90:91]
	s_delay_alu instid0(VALU_DEP_4) | instskip(SKIP_4) | instid1(VALU_DEP_4)
	v_add_f64_e32 v[76:77], v[76:77], v[88:89]
	v_mul_f64_e32 v[88:89], s[42:43], v[54:55]
	v_add_f64_e32 v[86:87], v[86:87], v[94:95]
	v_add_f64_e32 v[84:85], v[84:85], v[92:93]
	v_mul_f64_e32 v[92:93], s[42:43], v[52:53]
	v_fma_f64 v[90:91], v[56:57], s[24:25], -v[88:89]
	v_fma_f64 v[88:89], v[56:57], s[24:25], v[88:89]
	s_delay_alu instid0(VALU_DEP_3) | instskip(SKIP_1) | instid1(VALU_DEP_4)
	v_fma_f64 v[94:95], v[58:59], s[24:25], v[92:93]
	v_fma_f64 v[92:93], v[58:59], s[24:25], -v[92:93]
	v_add_f64_e32 v[90:91], v[90:91], v[98:99]
	s_delay_alu instid0(VALU_DEP_4) | instskip(SKIP_4) | instid1(VALU_DEP_4)
	v_add_f64_e32 v[88:89], v[88:89], v[96:97]
	v_mul_f64_e32 v[96:97], s[56:57], v[54:55]
	v_add_f64_e32 v[94:95], v[94:95], v[102:103]
	v_add_f64_e32 v[92:93], v[92:93], v[100:101]
	v_mul_f64_e32 v[100:101], s[56:57], v[52:53]
	v_fma_f64 v[98:99], v[56:57], s[22:23], -v[96:97]
	v_fma_f64 v[96:97], v[56:57], s[22:23], v[96:97]
	s_delay_alu instid0(VALU_DEP_3) | instskip(SKIP_1) | instid1(VALU_DEP_4)
	v_fma_f64 v[102:103], v[58:59], s[22:23], v[100:101]
	v_fma_f64 v[100:101], v[58:59], s[22:23], -v[100:101]
	v_add_f64_e32 v[98:99], v[98:99], v[106:107]
	s_delay_alu instid0(VALU_DEP_4) | instskip(SKIP_4) | instid1(VALU_DEP_4)
	v_add_f64_e32 v[96:97], v[96:97], v[104:105]
	v_mul_f64_e32 v[104:105], s[52:53], v[54:55]
	v_add_f64_e32 v[102:103], v[102:103], v[178:179]
	v_add_f64_e32 v[100:101], v[100:101], v[176:177]
	v_mul_f64_e32 v[176:177], s[52:53], v[52:53]
	v_fma_f64 v[106:107], v[56:57], s[18:19], -v[104:105]
	v_fma_f64 v[104:105], v[56:57], s[18:19], v[104:105]
	s_delay_alu instid0(VALU_DEP_3) | instskip(SKIP_1) | instid1(VALU_DEP_4)
	v_fma_f64 v[178:179], v[58:59], s[18:19], v[176:177]
	v_fma_f64 v[176:177], v[58:59], s[18:19], -v[176:177]
	v_add_f64_e32 v[106:107], v[106:107], v[182:183]
	s_delay_alu instid0(VALU_DEP_4)
	v_add_f64_e32 v[104:105], v[104:105], v[180:181]
	v_mul_f64_e32 v[180:181], s[34:35], v[54:55]
	v_mul_f64_e32 v[54:55], s[40:41], v[54:55]
	v_add_f64_e32 v[178:179], v[178:179], v[186:187]
	v_add_f64_e32 v[176:177], v[176:177], v[184:185]
	v_mul_f64_e32 v[184:185], s[34:35], v[52:53]
	v_mul_f64_e32 v[52:53], s[40:41], v[52:53]
	v_fma_f64 v[182:183], v[56:57], s[14:15], -v[180:181]
	v_fma_f64 v[180:181], v[56:57], s[14:15], v[180:181]
	s_delay_alu instid0(VALU_DEP_4) | instskip(SKIP_1) | instid1(VALU_DEP_4)
	v_fma_f64 v[186:187], v[58:59], s[14:15], v[184:185]
	v_fma_f64 v[184:185], v[58:59], s[14:15], -v[184:185]
	v_add_f64_e32 v[182:183], v[182:183], v[190:191]
	s_delay_alu instid0(VALU_DEP_4)
	v_add_f64_e32 v[180:181], v[180:181], v[188:189]
	v_fma_f64 v[188:189], v[56:57], s[8:9], -v[54:55]
	v_fma_f64 v[54:55], v[56:57], s[8:9], v[54:55]
	v_fma_f64 v[190:191], v[58:59], s[8:9], v[52:53]
	v_fma_f64 v[52:53], v[58:59], s[8:9], -v[52:53]
	v_add_f64_e32 v[186:187], v[186:187], v[194:195]
	v_add_f64_e32 v[184:185], v[184:185], v[192:193]
	v_add_f64_e32 v[188:189], v[188:189], v[196:197]
	v_add_f64_e32 v[0:1], v[54:55], v[0:1]
	v_add_f64_e32 v[54:55], v[46:47], v[50:51]
	v_add_f64_e64 v[46:47], v[46:47], -v[50:51]
	v_add_f64_e32 v[2:3], v[52:53], v[2:3]
	v_add_f64_e32 v[52:53], v[44:45], v[48:49]
	v_add_f64_e64 v[44:45], v[44:45], -v[48:49]
	v_add_f64_e32 v[190:191], v[190:191], v[198:199]
	v_mul_f64_e32 v[48:49], s[54:55], v[46:47]
	s_delay_alu instid0(VALU_DEP_3) | instskip(NEXT) | instid1(VALU_DEP_2)
	v_mul_f64_e32 v[56:57], s[54:55], v[44:45]
	v_fma_f64 v[50:51], v[52:53], s[14:15], -v[48:49]
	v_fma_f64 v[48:49], v[52:53], s[14:15], v[48:49]
	s_delay_alu instid0(VALU_DEP_3) | instskip(SKIP_1) | instid1(VALU_DEP_4)
	v_fma_f64 v[58:59], v[54:55], s[14:15], v[56:57]
	v_fma_f64 v[56:57], v[54:55], s[14:15], -v[56:57]
	v_add_f64_e32 v[50:51], v[50:51], v[62:63]
	s_delay_alu instid0(VALU_DEP_4) | instskip(SKIP_4) | instid1(VALU_DEP_4)
	v_add_f64_e32 v[48:49], v[48:49], v[60:61]
	v_mul_f64_e32 v[60:61], s[28:29], v[46:47]
	v_add_f64_e32 v[58:59], v[58:59], v[66:67]
	v_add_f64_e32 v[56:57], v[56:57], v[64:65]
	v_mul_f64_e32 v[64:65], s[28:29], v[44:45]
	v_fma_f64 v[62:63], v[52:53], s[20:21], -v[60:61]
	v_fma_f64 v[60:61], v[52:53], s[20:21], v[60:61]
	s_delay_alu instid0(VALU_DEP_3) | instskip(SKIP_1) | instid1(VALU_DEP_4)
	v_fma_f64 v[66:67], v[54:55], s[20:21], v[64:65]
	v_fma_f64 v[64:65], v[54:55], s[20:21], -v[64:65]
	v_add_f64_e32 v[62:63], v[62:63], v[70:71]
	s_delay_alu instid0(VALU_DEP_4) | instskip(SKIP_4) | instid1(VALU_DEP_4)
	v_add_f64_e32 v[60:61], v[60:61], v[68:69]
	v_mul_f64_e32 v[68:69], s[58:59], v[46:47]
	v_add_f64_e32 v[66:67], v[66:67], v[74:75]
	v_add_f64_e32 v[64:65], v[64:65], v[72:73]
	;; [unrolled: 12-line block ×5, first 2 shown]
	v_mul_f64_e32 v[100:101], s[44:45], v[44:45]
	v_fma_f64 v[98:99], v[52:53], s[8:9], -v[96:97]
	v_fma_f64 v[96:97], v[52:53], s[8:9], v[96:97]
	s_delay_alu instid0(VALU_DEP_3) | instskip(SKIP_1) | instid1(VALU_DEP_4)
	v_fma_f64 v[102:103], v[54:55], s[8:9], v[100:101]
	v_fma_f64 v[100:101], v[54:55], s[8:9], -v[100:101]
	v_add_f64_e32 v[98:99], v[98:99], v[106:107]
	s_delay_alu instid0(VALU_DEP_4)
	v_add_f64_e32 v[96:97], v[96:97], v[104:105]
	v_mul_f64_e32 v[104:105], s[46:47], v[46:47]
	v_mul_f64_e32 v[46:47], s[36:37], v[46:47]
	v_add_f64_e32 v[100:101], v[100:101], v[176:177]
	v_mul_f64_e32 v[176:177], s[46:47], v[44:45]
	v_mul_f64_e32 v[44:45], s[36:37], v[44:45]
	v_add_f64_e32 v[102:103], v[102:103], v[178:179]
	v_fma_f64 v[106:107], v[52:53], s[16:17], -v[104:105]
	v_fma_f64 v[104:105], v[52:53], s[16:17], v[104:105]
	v_fma_f64 v[178:179], v[54:55], s[16:17], v[176:177]
	v_fma_f64 v[176:177], v[54:55], s[16:17], -v[176:177]
	s_delay_alu instid0(VALU_DEP_4) | instskip(NEXT) | instid1(VALU_DEP_4)
	v_add_f64_e32 v[106:107], v[106:107], v[182:183]
	v_add_f64_e32 v[104:105], v[104:105], v[180:181]
	v_fma_f64 v[180:181], v[52:53], s[22:23], -v[46:47]
	v_fma_f64 v[46:47], v[52:53], s[22:23], v[46:47]
	v_fma_f64 v[182:183], v[54:55], s[22:23], v[44:45]
	v_fma_f64 v[44:45], v[54:55], s[22:23], -v[44:45]
	v_add_f64_e32 v[178:179], v[178:179], v[186:187]
	v_add_f64_e32 v[176:177], v[176:177], v[184:185]
	;; [unrolled: 1-line block ×5, first 2 shown]
	v_add_f64_e64 v[38:39], v[38:39], -v[42:43]
	v_add_f64_e32 v[2:3], v[44:45], v[2:3]
	v_add_f64_e32 v[44:45], v[36:37], v[40:41]
	v_add_f64_e64 v[36:37], v[36:37], -v[40:41]
	v_add_f64_e32 v[182:183], v[182:183], v[190:191]
	v_mul_f64_e32 v[40:41], s[46:47], v[38:39]
	s_delay_alu instid0(VALU_DEP_1) | instskip(SKIP_1) | instid1(VALU_DEP_2)
	v_fma_f64 v[42:43], v[44:45], s[16:17], -v[40:41]
	v_fma_f64 v[40:41], v[44:45], s[16:17], v[40:41]
	v_add_f64_e32 v[42:43], v[42:43], v[50:51]
	v_mul_f64_e32 v[50:51], s[46:47], v[36:37]
	s_delay_alu instid0(VALU_DEP_3) | instskip(NEXT) | instid1(VALU_DEP_2)
	v_add_f64_e32 v[40:41], v[40:41], v[48:49]
	v_fma_f64 v[52:53], v[46:47], s[16:17], v[50:51]
	v_fma_f64 v[48:49], v[46:47], s[16:17], -v[50:51]
	v_mul_f64_e32 v[50:51], s[42:43], v[38:39]
	s_delay_alu instid0(VALU_DEP_3) | instskip(NEXT) | instid1(VALU_DEP_3)
	v_add_f64_e32 v[52:53], v[52:53], v[58:59]
	v_add_f64_e32 v[48:49], v[48:49], v[56:57]
	s_delay_alu instid0(VALU_DEP_3) | instskip(SKIP_2) | instid1(VALU_DEP_3)
	v_fma_f64 v[54:55], v[44:45], s[24:25], -v[50:51]
	v_fma_f64 v[50:51], v[44:45], s[24:25], v[50:51]
	v_mul_f64_e32 v[56:57], s[42:43], v[36:37]
	v_add_f64_e32 v[54:55], v[54:55], v[62:63]
	s_delay_alu instid0(VALU_DEP_3) | instskip(SKIP_1) | instid1(VALU_DEP_4)
	v_add_f64_e32 v[50:51], v[50:51], v[60:61]
	v_mul_f64_e32 v[60:61], s[52:53], v[38:39]
	v_fma_f64 v[58:59], v[46:47], s[24:25], v[56:57]
	v_fma_f64 v[56:57], v[46:47], s[24:25], -v[56:57]
	s_delay_alu instid0(VALU_DEP_3) | instskip(SKIP_1) | instid1(VALU_DEP_3)
	v_fma_f64 v[62:63], v[44:45], s[18:19], -v[60:61]
	v_fma_f64 v[60:61], v[44:45], s[18:19], v[60:61]
	v_add_f64_e32 v[56:57], v[56:57], v[64:65]
	v_mul_f64_e32 v[64:65], s[52:53], v[36:37]
	v_add_f64_e32 v[58:59], v[58:59], v[66:67]
	v_add_f64_e32 v[62:63], v[62:63], v[70:71]
	v_add_f64_e32 v[60:61], v[60:61], v[68:69]
	v_mul_f64_e32 v[68:69], s[40:41], v[38:39]
	v_fma_f64 v[66:67], v[46:47], s[18:19], v[64:65]
	v_fma_f64 v[64:65], v[46:47], s[18:19], -v[64:65]
	s_delay_alu instid0(VALU_DEP_3) | instskip(SKIP_1) | instid1(VALU_DEP_3)
	v_fma_f64 v[70:71], v[44:45], s[8:9], -v[68:69]
	v_fma_f64 v[68:69], v[44:45], s[8:9], v[68:69]
	v_add_f64_e32 v[64:65], v[64:65], v[72:73]
	v_mul_f64_e32 v[72:73], s[40:41], v[36:37]
	v_add_f64_e32 v[66:67], v[66:67], v[74:75]
	v_add_f64_e32 v[70:71], v[70:71], v[82:83]
	v_add_f64_e32 v[68:69], v[68:69], v[76:77]
	v_mul_f64_e32 v[76:77], s[54:55], v[38:39]
	v_fma_f64 v[74:75], v[46:47], s[8:9], v[72:73]
	v_fma_f64 v[72:73], v[46:47], s[8:9], -v[72:73]
	s_delay_alu instid0(VALU_DEP_3) | instskip(SKIP_1) | instid1(VALU_DEP_3)
	v_fma_f64 v[82:83], v[44:45], s[14:15], -v[76:77]
	v_fma_f64 v[76:77], v[44:45], s[14:15], v[76:77]
	v_add_f64_e32 v[72:73], v[72:73], v[84:85]
	v_mul_f64_e32 v[84:85], s[54:55], v[36:37]
	v_add_f64_e32 v[74:75], v[74:75], v[86:87]
	v_add_f64_e32 v[82:83], v[82:83], v[90:91]
	v_add_f64_e32 v[76:77], v[76:77], v[88:89]
	v_mul_f64_e32 v[88:89], s[36:37], v[38:39]
	v_fma_f64 v[86:87], v[46:47], s[14:15], v[84:85]
	v_fma_f64 v[84:85], v[46:47], s[14:15], -v[84:85]
	s_delay_alu instid0(VALU_DEP_3) | instskip(SKIP_1) | instid1(VALU_DEP_3)
	v_fma_f64 v[90:91], v[44:45], s[22:23], -v[88:89]
	v_fma_f64 v[88:89], v[44:45], s[22:23], v[88:89]
	v_add_f64_e32 v[84:85], v[84:85], v[92:93]
	v_mul_f64_e32 v[92:93], s[36:37], v[36:37]
	v_add_f64_e32 v[86:87], v[86:87], v[94:95]
	v_add_f64_e32 v[90:91], v[90:91], v[98:99]
	v_add_f64_e32 v[88:89], v[88:89], v[96:97]
	v_mul_f64_e32 v[96:97], s[50:51], v[38:39]
	v_fma_f64 v[94:95], v[46:47], s[22:23], v[92:93]
	v_fma_f64 v[92:93], v[46:47], s[22:23], -v[92:93]
	v_mul_f64_e32 v[38:39], s[38:39], v[38:39]
	s_delay_alu instid0(VALU_DEP_4) | instskip(SKIP_1) | instid1(VALU_DEP_4)
	v_fma_f64 v[98:99], v[44:45], s[20:21], -v[96:97]
	v_fma_f64 v[96:97], v[44:45], s[20:21], v[96:97]
	v_add_f64_e32 v[92:93], v[92:93], v[100:101]
	v_mul_f64_e32 v[100:101], s[50:51], v[36:37]
	v_mul_f64_e32 v[36:37], s[38:39], v[36:37]
	v_add_f64_e32 v[94:95], v[94:95], v[102:103]
	v_add_f64_e32 v[98:99], v[98:99], v[106:107]
	;; [unrolled: 1-line block ×3, first 2 shown]
	v_fma_f64 v[104:105], v[44:45], s[2:3], -v[38:39]
	v_fma_f64 v[38:39], v[44:45], s[2:3], v[38:39]
	v_fma_f64 v[106:107], v[46:47], s[2:3], v[36:37]
	v_fma_f64 v[36:37], v[46:47], s[2:3], -v[36:37]
	v_fma_f64 v[102:103], v[46:47], s[20:21], v[100:101]
	v_fma_f64 v[100:101], v[46:47], s[20:21], -v[100:101]
	v_add_f64_e32 v[104:105], v[104:105], v[180:181]
	v_add_f64_e32 v[0:1], v[38:39], v[0:1]
	;; [unrolled: 1-line block ×3, first 2 shown]
	v_add_f64_e64 v[30:31], v[30:31], -v[34:35]
	v_add_f64_e32 v[2:3], v[36:37], v[2:3]
	v_add_f64_e32 v[36:37], v[28:29], v[32:33]
	v_add_f64_e64 v[28:29], v[28:29], -v[32:33]
	v_add_f64_e32 v[102:103], v[102:103], v[178:179]
	v_add_f64_e32 v[100:101], v[100:101], v[176:177]
	;; [unrolled: 1-line block ×4, first 2 shown]
	v_mul_f64_e32 v[32:33], s[26:27], v[30:31]
	s_delay_alu instid0(VALU_DEP_1) | instskip(SKIP_1) | instid1(VALU_DEP_2)
	v_fma_f64 v[34:35], v[36:37], s[18:19], -v[32:33]
	v_fma_f64 v[32:33], v[36:37], s[18:19], v[32:33]
	v_add_f64_e32 v[34:35], v[34:35], v[42:43]
	v_mul_f64_e32 v[42:43], s[26:27], v[28:29]
	s_delay_alu instid0(VALU_DEP_3) | instskip(NEXT) | instid1(VALU_DEP_2)
	v_add_f64_e32 v[32:33], v[32:33], v[40:41]
	v_fma_f64 v[44:45], v[38:39], s[18:19], v[42:43]
	v_fma_f64 v[40:41], v[38:39], s[18:19], -v[42:43]
	v_mul_f64_e32 v[42:43], s[56:57], v[30:31]
	s_delay_alu instid0(VALU_DEP_3) | instskip(NEXT) | instid1(VALU_DEP_3)
	v_add_f64_e32 v[44:45], v[44:45], v[52:53]
	v_add_f64_e32 v[40:41], v[40:41], v[48:49]
	s_delay_alu instid0(VALU_DEP_3) | instskip(SKIP_2) | instid1(VALU_DEP_3)
	v_fma_f64 v[46:47], v[36:37], s[22:23], -v[42:43]
	v_fma_f64 v[42:43], v[36:37], s[22:23], v[42:43]
	v_mul_f64_e32 v[48:49], s[56:57], v[28:29]
	v_add_f64_e32 v[46:47], v[46:47], v[54:55]
	s_delay_alu instid0(VALU_DEP_3) | instskip(SKIP_1) | instid1(VALU_DEP_4)
	v_add_f64_e32 v[42:43], v[42:43], v[50:51]
	v_mul_f64_e32 v[50:51], s[38:39], v[30:31]
	v_fma_f64 v[52:53], v[38:39], s[22:23], v[48:49]
	v_fma_f64 v[48:49], v[38:39], s[22:23], -v[48:49]
	s_delay_alu instid0(VALU_DEP_3) | instskip(SKIP_1) | instid1(VALU_DEP_3)
	v_fma_f64 v[54:55], v[36:37], s[2:3], -v[50:51]
	v_fma_f64 v[50:51], v[36:37], s[2:3], v[50:51]
	v_add_f64_e32 v[48:49], v[48:49], v[56:57]
	v_mul_f64_e32 v[56:57], s[38:39], v[28:29]
	v_add_f64_e32 v[52:53], v[52:53], v[58:59]
	v_add_f64_e32 v[54:55], v[54:55], v[62:63]
	v_add_f64_e32 v[50:51], v[50:51], v[60:61]
	v_mul_f64_e32 v[60:61], s[54:55], v[30:31]
	v_fma_f64 v[58:59], v[38:39], s[2:3], v[56:57]
	v_fma_f64 v[56:57], v[38:39], s[2:3], -v[56:57]
	s_delay_alu instid0(VALU_DEP_3) | instskip(SKIP_1) | instid1(VALU_DEP_3)
	v_fma_f64 v[62:63], v[36:37], s[14:15], -v[60:61]
	v_fma_f64 v[60:61], v[36:37], s[14:15], v[60:61]
	v_add_f64_e32 v[56:57], v[56:57], v[64:65]
	v_mul_f64_e32 v[64:65], s[54:55], v[28:29]
	v_add_f64_e32 v[58:59], v[58:59], v[66:67]
	v_add_f64_e32 v[62:63], v[62:63], v[70:71]
	;; [unrolled: 11-line block ×4, first 2 shown]
	v_add_f64_e32 v[76:77], v[76:77], v[88:89]
	v_mul_f64_e32 v[88:89], s[44:45], v[30:31]
	v_fma_f64 v[86:87], v[38:39], s[16:17], v[84:85]
	v_fma_f64 v[84:85], v[38:39], s[16:17], -v[84:85]
	v_mul_f64_e32 v[30:31], s[28:29], v[30:31]
	s_delay_alu instid0(VALU_DEP_4) | instskip(SKIP_1) | instid1(VALU_DEP_4)
	v_fma_f64 v[90:91], v[36:37], s[8:9], -v[88:89]
	v_fma_f64 v[88:89], v[36:37], s[8:9], v[88:89]
	v_add_f64_e32 v[84:85], v[84:85], v[92:93]
	v_mul_f64_e32 v[92:93], s[44:45], v[28:29]
	v_mul_f64_e32 v[28:29], s[28:29], v[28:29]
	v_add_f64_e32 v[86:87], v[86:87], v[94:95]
	v_add_f64_e32 v[90:91], v[90:91], v[98:99]
	;; [unrolled: 1-line block ×3, first 2 shown]
	v_fma_f64 v[96:97], v[36:37], s[20:21], -v[30:31]
	v_fma_f64 v[30:31], v[36:37], s[20:21], v[30:31]
	v_fma_f64 v[98:99], v[38:39], s[20:21], v[28:29]
	v_fma_f64 v[28:29], v[38:39], s[20:21], -v[28:29]
	v_fma_f64 v[94:95], v[38:39], s[8:9], v[92:93]
	v_fma_f64 v[92:93], v[38:39], s[8:9], -v[92:93]
	v_add_f64_e32 v[96:97], v[96:97], v[104:105]
	v_add_f64_e32 v[0:1], v[30:31], v[0:1]
	;; [unrolled: 1-line block ×3, first 2 shown]
	v_add_f64_e64 v[22:23], v[22:23], -v[26:27]
	v_add_f64_e32 v[2:3], v[28:29], v[2:3]
	v_add_f64_e32 v[28:29], v[20:21], v[24:25]
	v_add_f64_e64 v[20:21], v[20:21], -v[24:25]
	v_add_f64_e32 v[94:95], v[94:95], v[102:103]
	v_add_f64_e32 v[92:93], v[92:93], v[100:101]
	;; [unrolled: 1-line block ×3, first 2 shown]
	v_mul_f64_e32 v[24:25], s[28:29], v[22:23]
	s_delay_alu instid0(VALU_DEP_1) | instskip(SKIP_1) | instid1(VALU_DEP_2)
	v_fma_f64 v[26:27], v[28:29], s[20:21], -v[24:25]
	v_fma_f64 v[24:25], v[28:29], s[20:21], v[24:25]
	v_add_f64_e32 v[26:27], v[26:27], v[34:35]
	v_mul_f64_e32 v[34:35], s[28:29], v[20:21]
	s_delay_alu instid0(VALU_DEP_3) | instskip(NEXT) | instid1(VALU_DEP_2)
	v_add_f64_e32 v[24:25], v[24:25], v[32:33]
	v_fma_f64 v[32:33], v[30:31], s[20:21], -v[34:35]
	v_fma_f64 v[36:37], v[30:31], s[20:21], v[34:35]
	v_mul_f64_e32 v[34:35], s[52:53], v[22:23]
	s_delay_alu instid0(VALU_DEP_3) | instskip(SKIP_1) | instid1(VALU_DEP_4)
	v_add_f64_e32 v[32:33], v[32:33], v[40:41]
	v_mul_f64_e32 v[40:41], s[52:53], v[20:21]
	v_add_f64_e32 v[36:37], v[36:37], v[44:45]
	s_delay_alu instid0(VALU_DEP_4) | instskip(SKIP_1) | instid1(VALU_DEP_4)
	v_fma_f64 v[38:39], v[28:29], s[18:19], -v[34:35]
	v_fma_f64 v[34:35], v[28:29], s[18:19], v[34:35]
	v_fma_f64 v[44:45], v[30:31], s[18:19], v[40:41]
	v_fma_f64 v[40:41], v[30:31], s[18:19], -v[40:41]
	s_delay_alu instid0(VALU_DEP_4) | instskip(NEXT) | instid1(VALU_DEP_4)
	v_add_f64_e32 v[38:39], v[38:39], v[46:47]
	v_add_f64_e32 v[34:35], v[34:35], v[42:43]
	v_mul_f64_e32 v[42:43], s[44:45], v[22:23]
	v_add_f64_e32 v[44:45], v[44:45], v[52:53]
	v_add_f64_e32 v[40:41], v[40:41], v[48:49]
	v_mul_f64_e32 v[48:49], s[44:45], v[20:21]
	s_delay_alu instid0(VALU_DEP_4) | instskip(SKIP_1) | instid1(VALU_DEP_3)
	v_fma_f64 v[46:47], v[28:29], s[8:9], -v[42:43]
	v_fma_f64 v[42:43], v[28:29], s[8:9], v[42:43]
	v_fma_f64 v[52:53], v[30:31], s[8:9], v[48:49]
	v_fma_f64 v[48:49], v[30:31], s[8:9], -v[48:49]
	s_delay_alu instid0(VALU_DEP_4) | instskip(NEXT) | instid1(VALU_DEP_4)
	v_add_f64_e32 v[46:47], v[46:47], v[54:55]
	v_add_f64_e32 v[42:43], v[42:43], v[50:51]
	v_mul_f64_e32 v[50:51], s[36:37], v[22:23]
	v_add_f64_e32 v[52:53], v[52:53], v[58:59]
	v_add_f64_e32 v[48:49], v[48:49], v[56:57]
	v_mul_f64_e32 v[56:57], s[36:37], v[20:21]
	s_delay_alu instid0(VALU_DEP_4) | instskip(SKIP_1) | instid1(VALU_DEP_3)
	v_fma_f64 v[54:55], v[28:29], s[22:23], -v[50:51]
	v_fma_f64 v[50:51], v[28:29], s[22:23], v[50:51]
	v_fma_f64 v[58:59], v[30:31], s[22:23], v[56:57]
	v_fma_f64 v[56:57], v[30:31], s[22:23], -v[56:57]
	s_delay_alu instid0(VALU_DEP_4) | instskip(NEXT) | instid1(VALU_DEP_4)
	v_add_f64_e32 v[54:55], v[54:55], v[62:63]
	v_add_f64_e32 v[50:51], v[50:51], v[60:61]
	s_delay_alu instid0(VALU_DEP_4) | instskip(NEXT) | instid1(VALU_DEP_4)
	v_add_f64_e32 v[100:101], v[58:59], v[66:67]
	v_add_f64_e32 v[102:103], v[56:57], v[64:65]
	v_mul_f64_e32 v[56:57], s[30:31], v[22:23]
	s_delay_alu instid0(VALU_DEP_1) | instskip(SKIP_1) | instid1(VALU_DEP_2)
	v_fma_f64 v[58:59], v[28:29], s[16:17], -v[56:57]
	v_fma_f64 v[56:57], v[28:29], s[16:17], v[56:57]
	v_add_f64_e32 v[104:105], v[58:59], v[70:71]
	v_mul_f64_e32 v[58:59], s[30:31], v[20:21]
	s_delay_alu instid0(VALU_DEP_3) | instskip(NEXT) | instid1(VALU_DEP_2)
	v_add_f64_e32 v[106:107], v[56:57], v[68:69]
	v_fma_f64 v[56:57], v[30:31], s[16:17], -v[58:59]
	v_fma_f64 v[60:61], v[30:31], s[16:17], v[58:59]
	s_delay_alu instid0(VALU_DEP_2) | instskip(SKIP_1) | instid1(VALU_DEP_3)
	v_add_f64_e32 v[72:73], v[56:57], v[72:73]
	v_mul_f64_e32 v[56:57], s[48:49], v[22:23]
	v_add_f64_e32 v[74:75], v[60:61], v[74:75]
	s_delay_alu instid0(VALU_DEP_2) | instskip(SKIP_1) | instid1(VALU_DEP_2)
	v_fma_f64 v[58:59], v[28:29], s[2:3], -v[56:57]
	v_fma_f64 v[56:57], v[28:29], s[2:3], v[56:57]
	v_add_f64_e32 v[82:83], v[58:59], v[82:83]
	v_mul_f64_e32 v[58:59], s[48:49], v[20:21]
	s_delay_alu instid0(VALU_DEP_3) | instskip(NEXT) | instid1(VALU_DEP_2)
	v_add_f64_e32 v[76:77], v[56:57], v[76:77]
	v_fma_f64 v[56:57], v[30:31], s[2:3], -v[58:59]
	v_fma_f64 v[60:61], v[30:31], s[2:3], v[58:59]
	s_delay_alu instid0(VALU_DEP_2) | instskip(SKIP_2) | instid1(VALU_DEP_4)
	v_add_f64_e32 v[84:85], v[56:57], v[84:85]
	v_mul_f64_e32 v[56:57], s[42:43], v[22:23]
	v_mul_f64_e32 v[22:23], s[34:35], v[22:23]
	v_add_f64_e32 v[86:87], v[60:61], v[86:87]
	s_delay_alu instid0(VALU_DEP_3) | instskip(SKIP_1) | instid1(VALU_DEP_2)
	v_fma_f64 v[58:59], v[28:29], s[24:25], -v[56:57]
	v_fma_f64 v[56:57], v[28:29], s[24:25], v[56:57]
	v_add_f64_e32 v[90:91], v[58:59], v[90:91]
	v_mul_f64_e32 v[58:59], s[42:43], v[20:21]
	s_delay_alu instid0(VALU_DEP_3) | instskip(SKIP_1) | instid1(VALU_DEP_3)
	v_add_f64_e32 v[88:89], v[56:57], v[88:89]
	v_mul_f64_e32 v[20:21], s[34:35], v[20:21]
	v_fma_f64 v[56:57], v[30:31], s[24:25], -v[58:59]
	v_fma_f64 v[60:61], v[30:31], s[24:25], v[58:59]
	s_delay_alu instid0(VALU_DEP_2) | instskip(SKIP_2) | instid1(VALU_DEP_4)
	v_add_f64_e32 v[92:93], v[56:57], v[92:93]
	v_fma_f64 v[56:57], v[28:29], s[14:15], -v[22:23]
	v_fma_f64 v[22:23], v[28:29], s[14:15], v[22:23]
	v_add_f64_e32 v[94:95], v[60:61], v[94:95]
	s_delay_alu instid0(VALU_DEP_3) | instskip(SKIP_1) | instid1(VALU_DEP_4)
	v_add_f64_e32 v[96:97], v[56:57], v[96:97]
	v_fma_f64 v[56:57], v[30:31], s[14:15], v[20:21]
	v_add_f64_e32 v[0:1], v[22:23], v[0:1]
	v_fma_f64 v[20:21], v[30:31], s[14:15], -v[20:21]
	v_add_f64_e64 v[22:23], v[14:15], -v[18:19]
	s_delay_alu instid0(VALU_DEP_4) | instskip(NEXT) | instid1(VALU_DEP_3)
	v_add_f64_e32 v[98:99], v[56:57], v[98:99]
	v_add_f64_e32 v[176:177], v[20:21], v[2:3]
	;; [unrolled: 1-line block ×3, first 2 shown]
	v_add_f64_e64 v[20:21], v[12:13], -v[16:17]
	v_mul_f64_e32 v[12:13], s[36:37], v[22:23]
	s_delay_alu instid0(VALU_DEP_1) | instskip(SKIP_1) | instid1(VALU_DEP_2)
	v_fma_f64 v[14:15], v[2:3], s[22:23], -v[12:13]
	v_fma_f64 v[12:13], v[2:3], s[22:23], v[12:13]
	v_add_f64_e32 v[68:69], v[14:15], v[26:27]
	s_delay_alu instid0(VALU_DEP_2) | instskip(SKIP_2) | instid1(VALU_DEP_2)
	v_add_f64_e32 v[66:67], v[12:13], v[24:25]
	v_mul_f64_e32 v[24:25], s[46:47], v[22:23]
	v_mul_f64_e32 v[14:15], s[36:37], v[20:21]
	v_fma_f64 v[26:27], v[2:3], s[16:17], -v[24:25]
	v_fma_f64 v[24:25], v[2:3], s[16:17], v[24:25]
	s_delay_alu instid0(VALU_DEP_3) | instskip(SKIP_1) | instid1(VALU_DEP_4)
	v_fma_f64 v[12:13], v[178:179], s[22:23], -v[14:15]
	v_fma_f64 v[16:17], v[178:179], s[22:23], v[14:15]
	v_add_f64_e32 v[60:61], v[26:27], v[46:47]
	v_mul_f64_e32 v[26:27], s[46:47], v[20:21]
	v_add_f64_e32 v[58:59], v[24:25], v[42:43]
	v_add_f64_e32 v[64:65], v[12:13], v[32:33]
	v_mul_f64_e32 v[12:13], s[34:35], v[22:23]
	v_add_f64_e32 v[70:71], v[16:17], v[36:37]
	v_fma_f64 v[24:25], v[178:179], s[16:17], -v[26:27]
	v_fma_f64 v[28:29], v[178:179], s[16:17], v[26:27]
	s_delay_alu instid0(VALU_DEP_4) | instskip(SKIP_1) | instid1(VALU_DEP_4)
	v_fma_f64 v[14:15], v[2:3], s[14:15], -v[12:13]
	v_fma_f64 v[12:13], v[2:3], s[14:15], v[12:13]
	v_add_f64_e32 v[56:57], v[24:25], v[48:49]
	v_mul_f64_e32 v[24:25], s[50:51], v[22:23]
	v_add_f64_e32 v[62:63], v[28:29], v[52:53]
	v_add_f64_e32 v[16:17], v[14:15], v[38:39]
	v_mul_f64_e32 v[14:15], s[34:35], v[20:21]
	v_add_f64_e32 v[12:13], v[12:13], v[34:35]
	v_fma_f64 v[26:27], v[2:3], s[20:21], -v[24:25]
	v_fma_f64 v[24:25], v[2:3], s[20:21], v[24:25]
	s_delay_alu instid0(VALU_DEP_4) | instskip(SKIP_1) | instid1(VALU_DEP_4)
	v_fma_f64 v[18:19], v[178:179], s[14:15], v[14:15]
	v_fma_f64 v[14:15], v[178:179], s[14:15], -v[14:15]
	v_add_f64_e32 v[52:53], v[26:27], v[54:55]
	v_mul_f64_e32 v[26:27], s[50:51], v[20:21]
	v_add_f64_e32 v[50:51], v[24:25], v[50:51]
	v_add_f64_e32 v[18:19], v[18:19], v[44:45]
	;; [unrolled: 1-line block ×3, first 2 shown]
	s_delay_alu instid0(VALU_DEP_4) | instskip(SKIP_1) | instid1(VALU_DEP_2)
	v_fma_f64 v[24:25], v[178:179], s[20:21], -v[26:27]
	v_fma_f64 v[28:29], v[178:179], s[20:21], v[26:27]
	v_add_f64_e32 v[48:49], v[24:25], v[102:103]
	v_mul_f64_e32 v[24:25], s[44:45], v[22:23]
	s_delay_alu instid0(VALU_DEP_3) | instskip(SKIP_2) | instid1(VALU_DEP_4)
	v_add_f64_e32 v[54:55], v[28:29], v[100:101]
	v_add_f64_e64 v[100:101], v[162:163], -v[158:159]
	v_add_f64_e64 v[102:103], v[160:161], -v[156:157]
	v_fma_f64 v[26:27], v[2:3], s[8:9], -v[24:25]
	v_fma_f64 v[24:25], v[2:3], s[8:9], v[24:25]
	s_delay_alu instid0(VALU_DEP_4) | instskip(NEXT) | instid1(VALU_DEP_4)
	v_mul_f64_e32 v[232:233], s[36:37], v[100:101]
	v_mul_f64_e32 v[234:235], s[36:37], v[102:103]
	;; [unrolled: 1-line block ×6, first 2 shown]
	v_add_f64_e32 v[44:45], v[26:27], v[104:105]
	v_mul_f64_e32 v[26:27], s[44:45], v[20:21]
	v_add_f64_e32 v[42:43], v[24:25], v[106:107]
	v_add_f64_e64 v[106:107], v[170:171], -v[174:175]
	s_delay_alu instid0(VALU_DEP_3) | instskip(SKIP_1) | instid1(VALU_DEP_2)
	v_fma_f64 v[24:25], v[178:179], s[8:9], -v[26:27]
	v_fma_f64 v[28:29], v[178:179], s[8:9], v[26:27]
	v_add_f64_e32 v[40:41], v[24:25], v[72:73]
	v_mul_f64_e32 v[24:25], s[42:43], v[22:23]
	s_delay_alu instid0(VALU_DEP_3) | instskip(SKIP_2) | instid1(VALU_DEP_4)
	v_add_f64_e32 v[46:47], v[28:29], v[74:75]
	v_mul_f64_e32 v[72:73], s[38:39], v[20:21]
	v_mul_f64_e32 v[74:75], s[26:27], v[20:21]
	v_fma_f64 v[26:27], v[2:3], s[24:25], -v[24:25]
	v_fma_f64 v[24:25], v[2:3], s[24:25], v[24:25]
	s_delay_alu instid0(VALU_DEP_2) | instskip(SKIP_1) | instid1(VALU_DEP_3)
	v_add_f64_e32 v[36:37], v[26:27], v[82:83]
	v_mul_f64_e32 v[26:27], s[42:43], v[20:21]
	v_add_f64_e32 v[34:35], v[24:25], v[76:77]
	v_fma_f64 v[20:21], v[178:179], s[18:19], v[74:75]
	v_add_f64_e32 v[76:77], v[162:163], v[158:159]
	s_delay_alu instid0(VALU_DEP_4) | instskip(SKIP_1) | instid1(VALU_DEP_4)
	v_fma_f64 v[24:25], v[178:179], s[24:25], -v[26:27]
	v_fma_f64 v[28:29], v[178:179], s[24:25], v[26:27]
	v_add_f64_e32 v[20:21], v[20:21], v[98:99]
	s_delay_alu instid0(VALU_DEP_3) | instskip(SKIP_1) | instid1(VALU_DEP_4)
	v_add_f64_e32 v[32:33], v[24:25], v[84:85]
	v_mul_f64_e32 v[24:25], s[38:39], v[22:23]
	v_add_f64_e32 v[38:39], v[28:29], v[86:87]
	s_delay_alu instid0(VALU_DEP_2) | instskip(SKIP_1) | instid1(VALU_DEP_2)
	v_fma_f64 v[26:27], v[2:3], s[2:3], -v[24:25]
	v_fma_f64 v[24:25], v[2:3], s[2:3], v[24:25]
	v_add_f64_e32 v[28:29], v[26:27], v[90:91]
	v_fma_f64 v[26:27], v[178:179], s[2:3], v[72:73]
	v_add_f64_e32 v[90:91], v[142:143], v[126:127]
	s_delay_alu instid0(VALU_DEP_2) | instskip(SKIP_3) | instid1(VALU_DEP_2)
	v_add_f64_e32 v[30:31], v[26:27], v[94:95]
	v_add_f64_e32 v[26:27], v[24:25], v[88:89]
	v_fma_f64 v[24:25], v[178:179], s[2:3], -v[72:73]
	v_mul_f64_e32 v[72:73], s[26:27], v[22:23]
	v_add_f64_e32 v[24:25], v[24:25], v[92:93]
	s_delay_alu instid0(VALU_DEP_2) | instskip(SKIP_3) | instid1(VALU_DEP_4)
	v_fma_f64 v[22:23], v[2:3], s[18:19], -v[72:73]
	v_fma_f64 v[2:3], v[2:3], s[18:19], v[72:73]
	v_add_f64_e32 v[72:73], v[6:7], v[10:11]
	v_add_f64_e64 v[6:7], v[6:7], -v[10:11]
	v_add_f64_e32 v[22:23], v[22:23], v[96:97]
	s_delay_alu instid0(VALU_DEP_4) | instskip(SKIP_4) | instid1(VALU_DEP_4)
	v_add_f64_e32 v[2:3], v[2:3], v[0:1]
	v_fma_f64 v[0:1], v[178:179], s[18:19], -v[74:75]
	v_add_f64_e32 v[74:75], v[4:5], v[8:9]
	v_add_f64_e64 v[4:5], v[4:5], -v[8:9]
	v_mul_f64_e32 v[8:9], s[42:43], v[6:7]
	v_add_f64_e32 v[0:1], v[0:1], v[176:177]
	s_delay_alu instid0(VALU_DEP_2) | instskip(SKIP_1) | instid1(VALU_DEP_2)
	v_fma_f64 v[10:11], v[74:75], s[24:25], -v[8:9]
	v_fma_f64 v[8:9], v[74:75], s[24:25], v[8:9]
	v_add_f64_e32 v[82:83], v[10:11], v[68:69]
	v_mul_f64_e32 v[10:11], s[42:43], v[4:5]
	s_delay_alu instid0(VALU_DEP_3) | instskip(NEXT) | instid1(VALU_DEP_2)
	v_add_f64_e32 v[66:67], v[8:9], v[66:67]
	v_fma_f64 v[68:69], v[72:73], s[24:25], v[10:11]
	v_fma_f64 v[8:9], v[72:73], s[24:25], -v[10:11]
	s_delay_alu instid0(VALU_DEP_2) | instskip(NEXT) | instid1(VALU_DEP_2)
	v_add_f64_e32 v[84:85], v[68:69], v[70:71]
	v_add_f64_e32 v[68:69], v[8:9], v[64:65]
	v_mul_f64_e32 v[8:9], s[40:41], v[6:7]
	s_clause 0x1
	scratch_store_b128 off, v[82:85], off offset:452
	scratch_store_b128 off, v[66:69], off offset:436
	v_fma_f64 v[10:11], v[74:75], s[8:9], -v[8:9]
	v_fma_f64 v[8:9], v[74:75], s[8:9], v[8:9]
	v_add_f64_e32 v[84:85], v[140:141], v[124:125]
	s_delay_alu instid0(VALU_DEP_3) | instskip(SKIP_1) | instid1(VALU_DEP_4)
	v_add_f64_e32 v[16:17], v[10:11], v[16:17]
	v_mul_f64_e32 v[10:11], s[40:41], v[4:5]
	v_add_f64_e32 v[12:13], v[8:9], v[12:13]
	s_delay_alu instid0(VALU_DEP_2) | instskip(SKIP_1) | instid1(VALU_DEP_2)
	v_fma_f64 v[8:9], v[72:73], s[8:9], -v[10:11]
	v_fma_f64 v[64:65], v[72:73], s[8:9], v[10:11]
	v_add_f64_e32 v[14:15], v[8:9], v[14:15]
	v_mul_f64_e32 v[8:9], s[36:37], v[6:7]
	s_delay_alu instid0(VALU_DEP_3)
	v_add_f64_e32 v[18:19], v[64:65], v[18:19]
	scratch_store_b128 off, v[12:15], off offset:468 ; 16-byte Folded Spill
	v_fma_f64 v[10:11], v[74:75], s[22:23], -v[8:9]
	scratch_store_b128 off, v[16:19], off offset:484 ; 16-byte Folded Spill
	v_fma_f64 v[8:9], v[74:75], s[22:23], v[8:9]
	v_add_f64_e32 v[12:13], v[10:11], v[60:61]
	v_mul_f64_e32 v[10:11], s[36:37], v[4:5]
	s_delay_alu instid0(VALU_DEP_1) | instskip(NEXT) | instid1(VALU_DEP_1)
	v_fma_f64 v[60:61], v[72:73], s[22:23], v[10:11]
	v_add_f64_e32 v[14:15], v[60:61], v[62:63]
	scratch_store_b128 off, v[12:15], off offset:516 ; 16-byte Folded Spill
	v_add_f64_e32 v[12:13], v[8:9], v[58:59]
	v_fma_f64 v[8:9], v[72:73], s[22:23], -v[10:11]
	v_add_f64_e64 v[58:59], v[146:147], -v[118:119]
	s_delay_alu instid0(VALU_DEP_2) | instskip(SKIP_2) | instid1(VALU_DEP_2)
	v_add_f64_e32 v[14:15], v[8:9], v[56:57]
	v_mul_f64_e32 v[8:9], s[38:39], v[6:7]
	v_add_f64_e64 v[56:57], v[144:145], -v[116:117]
	v_fma_f64 v[10:11], v[74:75], s[2:3], -v[8:9]
	v_fma_f64 v[8:9], v[74:75], s[2:3], v[8:9]
	s_delay_alu instid0(VALU_DEP_2) | instskip(SKIP_1) | instid1(VALU_DEP_3)
	v_add_f64_e32 v[188:189], v[10:11], v[52:53]
	v_mul_f64_e32 v[10:11], s[38:39], v[4:5]
	v_add_f64_e32 v[184:185], v[8:9], v[50:51]
	s_delay_alu instid0(VALU_DEP_2) | instskip(SKIP_1) | instid1(VALU_DEP_2)
	v_fma_f64 v[8:9], v[72:73], s[2:3], -v[10:11]
	v_fma_f64 v[52:53], v[72:73], s[2:3], v[10:11]
	v_add_f64_e32 v[186:187], v[8:9], v[48:49]
	v_mul_f64_e32 v[8:9], s[28:29], v[6:7]
	s_delay_alu instid0(VALU_DEP_3) | instskip(NEXT) | instid1(VALU_DEP_2)
	v_add_f64_e32 v[190:191], v[52:53], v[54:55]
	v_fma_f64 v[10:11], v[74:75], s[20:21], -v[8:9]
	v_fma_f64 v[8:9], v[74:75], s[20:21], v[8:9]
	s_delay_alu instid0(VALU_DEP_2) | instskip(SKIP_1) | instid1(VALU_DEP_3)
	v_add_f64_e32 v[196:197], v[10:11], v[44:45]
	v_mul_f64_e32 v[10:11], s[28:29], v[4:5]
	v_add_f64_e32 v[192:193], v[8:9], v[42:43]
	s_delay_alu instid0(VALU_DEP_2) | instskip(SKIP_1) | instid1(VALU_DEP_2)
	v_fma_f64 v[8:9], v[72:73], s[20:21], -v[10:11]
	v_fma_f64 v[44:45], v[72:73], s[20:21], v[10:11]
	v_add_f64_e32 v[194:195], v[8:9], v[40:41]
	v_mul_f64_e32 v[8:9], s[34:35], v[6:7]
	s_delay_alu instid0(VALU_DEP_3) | instskip(NEXT) | instid1(VALU_DEP_2)
	v_add_f64_e32 v[198:199], v[44:45], v[46:47]
	v_fma_f64 v[10:11], v[74:75], s[14:15], -v[8:9]
	v_fma_f64 v[8:9], v[74:75], s[14:15], v[8:9]
	s_delay_alu instid0(VALU_DEP_2) | instskip(SKIP_1) | instid1(VALU_DEP_3)
	v_add_f64_e32 v[200:201], v[10:11], v[36:37]
	v_mul_f64_e32 v[10:11], s[34:35], v[4:5]
	v_add_f64_e32 v[204:205], v[8:9], v[34:35]
	s_delay_alu instid0(VALU_DEP_2) | instskip(SKIP_1) | instid1(VALU_DEP_2)
	v_fma_f64 v[8:9], v[72:73], s[14:15], -v[10:11]
	v_fma_f64 v[36:37], v[72:73], s[14:15], v[10:11]
	v_add_f64_e32 v[206:207], v[8:9], v[32:33]
	v_mul_f64_e32 v[8:9], s[26:27], v[6:7]
	v_mul_f64_e32 v[6:7], s[30:31], v[6:7]
	s_delay_alu instid0(VALU_DEP_4) | instskip(NEXT) | instid1(VALU_DEP_3)
	v_add_f64_e32 v[202:203], v[36:37], v[38:39]
	v_fma_f64 v[10:11], v[74:75], s[18:19], -v[8:9]
	v_fma_f64 v[8:9], v[74:75], s[18:19], v[8:9]
	s_delay_alu instid0(VALU_DEP_2) | instskip(SKIP_1) | instid1(VALU_DEP_3)
	v_add_f64_e32 v[208:209], v[10:11], v[28:29]
	v_mul_f64_e32 v[10:11], s[26:27], v[4:5]
	v_add_f64_e32 v[16:17], v[8:9], v[26:27]
	v_mul_f64_e32 v[4:5], s[30:31], v[4:5]
	s_delay_alu instid0(VALU_DEP_3) | instskip(SKIP_1) | instid1(VALU_DEP_2)
	v_fma_f64 v[8:9], v[72:73], s[18:19], -v[10:11]
	v_fma_f64 v[28:29], v[72:73], s[18:19], v[10:11]
	v_add_f64_e32 v[18:19], v[8:9], v[24:25]
	v_fma_f64 v[8:9], v[74:75], s[16:17], -v[6:7]
	v_fma_f64 v[6:7], v[74:75], s[16:17], v[6:7]
	s_delay_alu instid0(VALU_DEP_4) | instskip(NEXT) | instid1(VALU_DEP_3)
	v_add_f64_e32 v[210:211], v[28:29], v[30:31]
	v_add_f64_e32 v[176:177], v[8:9], v[22:23]
	s_delay_alu instid0(VALU_DEP_3) | instskip(SKIP_3) | instid1(VALU_DEP_3)
	v_add_f64_e32 v[223:224], v[6:7], v[2:3]
	v_fma_f64 v[2:3], v[72:73], s[16:17], -v[4:5]
	v_fma_f64 v[8:9], v[72:73], s[16:17], v[4:5]
	v_add_f64_e32 v[22:23], v[138:139], v[114:115]
	v_add_f64_e32 v[225:226], v[2:3], v[0:1]
	v_add_f64_e64 v[2:3], v[138:139], -v[114:115]
	s_delay_alu instid0(VALU_DEP_4) | instskip(SKIP_2) | instid1(VALU_DEP_4)
	v_add_f64_e32 v[178:179], v[8:9], v[20:21]
	v_add_f64_e32 v[20:21], v[136:137], v[112:113]
	v_add_f64_e64 v[0:1], v[136:137], -v[112:113]
	v_mul_f64_e32 v[4:5], s[44:45], v[2:3]
	scratch_store_b128 off, v[12:15], off offset:500 ; 16-byte Folded Spill
	v_mul_f64_e32 v[12:13], s[54:55], v[2:3]
	v_mul_f64_e32 v[10:11], s[48:49], v[0:1]
	;; [unrolled: 1-line block ×5, first 2 shown]
	scratch_store_b64 off, v[4:5], off offset:564 ; 8-byte Folded Spill
	v_fma_f64 v[4:5], v[20:21], s[8:9], v[4:5]
	v_fma_f64 v[24:25], v[20:21], s[14:15], v[12:13]
	s_clause 0x1
	scratch_store_b64 off, v[10:11], off offset:612
	scratch_store_b64 off, v[12:13], off offset:628
	v_mul_f64_e32 v[12:13], s[46:47], v[2:3]
	scratch_store_b64 off, v[14:15], off offset:644 ; 8-byte Folded Spill
	v_fma_f64 v[10:11], v[22:23], s[2:3], -v[10:11]
	scratch_store_b64 off, v[8:9], off offset:596 ; 8-byte Folded Spill
	v_fma_f64 v[8:9], v[20:21], s[2:3], v[8:9]
	v_add_f64_e32 v[4:5], v[4:5], v[108:109]
	v_add_f64_e32 v[28:29], v[24:25], v[108:109]
	v_fma_f64 v[24:25], v[22:23], s[14:15], -v[14:15]
	v_mul_f64_e32 v[14:15], s[46:47], v[0:1]
	scratch_store_b64 off, v[12:13], off offset:660 ; 8-byte Folded Spill
	v_add_f64_e32 v[10:11], v[10:11], v[110:111]
	v_add_f64_e32 v[8:9], v[8:9], v[108:109]
	;; [unrolled: 1-line block ×3, first 2 shown]
	v_fma_f64 v[24:25], v[20:21], s[16:17], v[12:13]
	v_mul_f64_e32 v[12:13], s[26:27], v[2:3]
	scratch_store_b64 off, v[14:15], off offset:676 ; 8-byte Folded Spill
	v_add_f64_e32 v[32:33], v[24:25], v[108:109]
	v_fma_f64 v[24:25], v[22:23], s[16:17], -v[14:15]
	v_mul_f64_e32 v[14:15], s[26:27], v[0:1]
	scratch_store_b64 off, v[12:13], off offset:692 ; 8-byte Folded Spill
	v_add_f64_e32 v[34:35], v[24:25], v[110:111]
	v_fma_f64 v[24:25], v[20:21], s[18:19], v[12:13]
	v_mul_f64_e32 v[12:13], s[28:29], v[2:3]
	scratch_store_b64 off, v[14:15], off offset:708 ; 8-byte Folded Spill
	v_add_f64_e32 v[36:37], v[24:25], v[108:109]
	scratch_store_b64 off, v[12:13], off offset:724 ; 8-byte Folded Spill
	v_fma_f64 v[24:25], v[22:23], s[18:19], -v[14:15]
	v_mul_f64_e32 v[14:15], s[28:29], v[0:1]
	s_delay_alu instid0(VALU_DEP_2)
	v_add_f64_e32 v[38:39], v[24:25], v[110:111]
	v_fma_f64 v[24:25], v[20:21], s[20:21], v[12:13]
	v_mul_f64_e32 v[12:13], s[48:49], v[58:59]
	scratch_store_b64 off, v[14:15], off offset:740 ; 8-byte Folded Spill
	v_add_f64_e32 v[40:41], v[24:25], v[108:109]
	v_fma_f64 v[24:25], v[22:23], s[20:21], -v[14:15]
	v_mul_f64_e32 v[14:15], s[48:49], v[56:57]
	s_clause 0x1
	scratch_store_b64 off, v[12:13], off offset:532
	scratch_store_b64 off, v[6:7], off offset:580
	v_fma_f64 v[6:7], v[22:23], s[8:9], -v[6:7]
	v_add_f64_e32 v[42:43], v[24:25], v[110:111]
	v_mul_f64_e32 v[24:25], s[36:37], v[2:3]
	v_mul_f64_e32 v[2:3], s[42:43], v[2:3]
	scratch_store_b64 off, v[14:15], off offset:548 ; 8-byte Folded Spill
	v_add_f64_e32 v[6:7], v[6:7], v[110:111]
	v_fma_f64 v[26:27], v[20:21], s[22:23], -v[24:25]
	v_fma_f64 v[24:25], v[20:21], s[22:23], v[24:25]
	s_delay_alu instid0(VALU_DEP_2) | instskip(SKIP_1) | instid1(VALU_DEP_3)
	v_add_f64_e32 v[44:45], v[26:27], v[108:109]
	v_mul_f64_e32 v[26:27], s[36:37], v[0:1]
	v_add_f64_e32 v[48:49], v[24:25], v[108:109]
	v_mul_f64_e32 v[0:1], s[42:43], v[0:1]
	s_delay_alu instid0(VALU_DEP_3) | instskip(SKIP_2) | instid1(VALU_DEP_3)
	v_fma_f64 v[24:25], v[22:23], s[22:23], -v[26:27]
	v_fma_f64 v[46:47], v[22:23], s[22:23], v[26:27]
	v_add_f64_e32 v[26:27], v[118:119], v[146:147]
	v_add_f64_e32 v[50:51], v[24:25], v[110:111]
	v_fma_f64 v[24:25], v[20:21], s[24:25], -v[2:3]
	v_fma_f64 v[2:3], v[20:21], s[24:25], v[2:3]
	v_add_f64_e32 v[46:47], v[46:47], v[110:111]
	s_delay_alu instid0(VALU_DEP_3) | instskip(SKIP_3) | instid1(VALU_DEP_3)
	v_add_f64_e32 v[52:53], v[24:25], v[108:109]
	v_fma_f64 v[24:25], v[22:23], s[24:25], v[0:1]
	v_fma_f64 v[0:1], v[22:23], s[24:25], -v[0:1]
	v_add_f64_e32 v[2:3], v[2:3], v[108:109]
	v_add_f64_e32 v[54:55], v[24:25], v[110:111]
	v_add_f64_e32 v[24:25], v[116:117], v[144:145]
	s_delay_alu instid0(VALU_DEP_4) | instskip(NEXT) | instid1(VALU_DEP_2)
	v_add_f64_e32 v[0:1], v[0:1], v[110:111]
	v_fma_f64 v[60:61], v[24:25], s[2:3], v[12:13]
	v_mul_f64_e32 v[12:13], s[46:47], v[58:59]
	s_delay_alu instid0(VALU_DEP_2)
	v_add_f64_e32 v[4:5], v[4:5], v[60:61]
	v_fma_f64 v[60:61], v[26:27], s[2:3], -v[14:15]
	v_mul_f64_e32 v[14:15], s[46:47], v[56:57]
	scratch_store_b64 off, v[12:13], off offset:852 ; 8-byte Folded Spill
	v_add_f64_e32 v[6:7], v[60:61], v[6:7]
	scratch_store_b64 off, v[14:15], off offset:868 ; 8-byte Folded Spill
	v_fma_f64 v[60:61], v[24:25], s[16:17], v[12:13]
	v_mul_f64_e32 v[12:13], s[28:29], v[58:59]
	s_delay_alu instid0(VALU_DEP_2)
	v_add_f64_e32 v[8:9], v[8:9], v[60:61]
	v_fma_f64 v[60:61], v[26:27], s[16:17], -v[14:15]
	v_mul_f64_e32 v[14:15], s[28:29], v[56:57]
	scratch_store_b64 off, v[12:13], off offset:820 ; 8-byte Folded Spill
	v_add_f64_e32 v[10:11], v[60:61], v[10:11]
	scratch_store_b64 off, v[14:15], off offset:836 ; 8-byte Folded Spill
	;; [unrolled: 9-line block ×3, first 2 shown]
	v_fma_f64 v[60:61], v[24:25], s[24:25], v[12:13]
	v_mul_f64_e32 v[12:13], s[56:57], v[58:59]
	s_delay_alu instid0(VALU_DEP_2)
	v_add_f64_e32 v[32:33], v[32:33], v[60:61]
	v_fma_f64 v[60:61], v[26:27], s[24:25], -v[14:15]
	v_mul_f64_e32 v[14:15], s[56:57], v[56:57]
	scratch_store_b64 off, v[12:13], off offset:756 ; 8-byte Folded Spill
	v_add_f64_e32 v[34:35], v[60:61], v[34:35]
	v_fma_f64 v[60:61], v[24:25], s[22:23], v[12:13]
	v_mul_f64_e32 v[12:13], s[52:53], v[58:59]
	scratch_store_b64 off, v[14:15], off offset:772 ; 8-byte Folded Spill
	v_add_f64_e32 v[36:37], v[36:37], v[60:61]
	v_fma_f64 v[60:61], v[26:27], s[22:23], -v[14:15]
	v_mul_f64_e32 v[14:15], s[52:53], v[56:57]
	scratch_store_b64 off, v[12:13], off offset:892 ; 8-byte Folded Spill
	v_add_f64_e32 v[38:39], v[60:61], v[38:39]
	scratch_store_b64 off, v[14:15], off offset:908 ; 8-byte Folded Spill
	v_fma_f64 v[60:61], v[24:25], s[18:19], v[12:13]
	s_delay_alu instid0(VALU_DEP_1) | instskip(SKIP_1) | instid1(VALU_DEP_1)
	v_add_f64_e32 v[40:41], v[40:41], v[60:61]
	v_fma_f64 v[60:61], v[26:27], s[18:19], -v[14:15]
	v_add_f64_e32 v[42:43], v[60:61], v[42:43]
	v_mul_f64_e32 v[60:61], s[34:35], v[58:59]
	v_mul_f64_e32 v[58:59], s[40:41], v[58:59]
	s_delay_alu instid0(VALU_DEP_2) | instskip(SKIP_1) | instid1(VALU_DEP_2)
	v_fma_f64 v[62:63], v[24:25], s[14:15], -v[60:61]
	v_fma_f64 v[60:61], v[24:25], s[14:15], v[60:61]
	v_add_f64_e32 v[44:45], v[44:45], v[62:63]
	v_mul_f64_e32 v[62:63], s[34:35], v[56:57]
	s_delay_alu instid0(VALU_DEP_3) | instskip(NEXT) | instid1(VALU_DEP_2)
	v_add_f64_e32 v[48:49], v[48:49], v[60:61]
	v_fma_f64 v[60:61], v[26:27], s[14:15], -v[62:63]
	v_fma_f64 v[64:65], v[26:27], s[14:15], v[62:63]
	s_delay_alu instid0(VALU_DEP_2) | instskip(SKIP_1) | instid1(VALU_DEP_3)
	v_add_f64_e32 v[50:51], v[60:61], v[50:51]
	v_fma_f64 v[60:61], v[24:25], s[8:9], -v[58:59]
	v_add_f64_e32 v[46:47], v[64:65], v[46:47]
	s_delay_alu instid0(VALU_DEP_2) | instskip(SKIP_2) | instid1(VALU_DEP_2)
	v_add_f64_e32 v[62:63], v[52:53], v[60:61]
	v_mul_f64_e32 v[52:53], s[40:41], v[56:57]
	v_add_f64_e32 v[60:61], v[122:123], v[150:151]
	v_fma_f64 v[56:57], v[26:27], s[8:9], v[52:53]
	v_fma_f64 v[52:53], v[26:27], s[8:9], -v[52:53]
	s_delay_alu instid0(VALU_DEP_2) | instskip(SKIP_2) | instid1(VALU_DEP_4)
	v_add_f64_e32 v[54:55], v[56:57], v[54:55]
	v_fma_f64 v[56:57], v[24:25], s[8:9], v[58:59]
	v_add_f64_e64 v[58:59], v[150:151], -v[122:123]
	v_add_f64_e32 v[0:1], v[52:53], v[0:1]
	v_add_f64_e32 v[52:53], v[120:121], v[148:149]
	s_delay_alu instid0(VALU_DEP_4) | instskip(SKIP_2) | instid1(VALU_DEP_2)
	v_add_f64_e32 v[2:3], v[2:3], v[56:57]
	v_add_f64_e64 v[56:57], v[148:149], -v[120:121]
	v_mul_f64_e32 v[12:13], s[54:55], v[58:59]
	v_mul_f64_e32 v[14:15], s[54:55], v[56:57]
	s_delay_alu instid0(VALU_DEP_2)
	v_fma_f64 v[64:65], v[52:53], s[14:15], v[12:13]
	scratch_store_b64 off, v[12:13], off offset:876 ; 8-byte Folded Spill
	v_mul_f64_e32 v[12:13], s[28:29], v[58:59]
	v_add_f64_e32 v[4:5], v[64:65], v[4:5]
	v_fma_f64 v[64:65], v[60:61], s[14:15], -v[14:15]
	scratch_store_b64 off, v[12:13], off offset:972 ; 8-byte Folded Spill
	v_add_f64_e32 v[6:7], v[64:65], v[6:7]
	v_fma_f64 v[64:65], v[52:53], s[20:21], v[12:13]
	v_mul_f64_e32 v[12:13], s[58:59], v[58:59]
	scratch_store_b64 off, v[14:15], off offset:884 ; 8-byte Folded Spill
	v_mul_f64_e32 v[14:15], s[28:29], v[56:57]
	v_add_f64_e32 v[8:9], v[64:65], v[8:9]
	s_delay_alu instid0(VALU_DEP_2)
	v_fma_f64 v[64:65], v[60:61], s[20:21], -v[14:15]
	scratch_store_b64 off, v[14:15], off offset:980 ; 8-byte Folded Spill
	v_mul_f64_e32 v[14:15], s[58:59], v[56:57]
	scratch_store_b64 off, v[12:13], off offset:956 ; 8-byte Folded Spill
	v_add_f64_e32 v[10:11], v[64:65], v[10:11]
	v_fma_f64 v[64:65], v[52:53], s[24:25], v[12:13]
	scratch_store_b64 off, v[14:15], off offset:964 ; 8-byte Folded Spill
	v_mul_f64_e32 v[12:13], s[52:53], v[58:59]
	v_add_f64_e32 v[28:29], v[64:65], v[28:29]
	v_fma_f64 v[64:65], v[60:61], s[24:25], -v[14:15]
	v_mul_f64_e32 v[14:15], s[52:53], v[56:57]
	scratch_store_b64 off, v[12:13], off offset:940 ; 8-byte Folded Spill
	v_add_f64_e32 v[30:31], v[64:65], v[30:31]
	scratch_store_b64 off, v[14:15], off offset:948 ; 8-byte Folded Spill
	v_fma_f64 v[64:65], v[52:53], s[18:19], v[12:13]
	v_mul_f64_e32 v[12:13], s[38:39], v[58:59]
	s_delay_alu instid0(VALU_DEP_2)
	v_add_f64_e32 v[32:33], v[64:65], v[32:33]
	v_fma_f64 v[64:65], v[60:61], s[18:19], -v[14:15]
	v_mul_f64_e32 v[14:15], s[38:39], v[56:57]
	scratch_store_b64 off, v[12:13], off offset:916 ; 8-byte Folded Spill
	v_add_f64_e32 v[34:35], v[64:65], v[34:35]
	v_fma_f64 v[64:65], v[52:53], s[2:3], v[12:13]
	v_mul_f64_e32 v[12:13], s[44:45], v[58:59]
	scratch_store_b64 off, v[14:15], off offset:924 ; 8-byte Folded Spill
	v_add_f64_e32 v[36:37], v[64:65], v[36:37]
	v_fma_f64 v[64:65], v[60:61], s[2:3], -v[14:15]
	v_mul_f64_e32 v[14:15], s[44:45], v[56:57]
	scratch_store_b64 off, v[12:13], off offset:1004 ; 8-byte Folded Spill
	v_add_f64_e32 v[38:39], v[64:65], v[38:39]
	scratch_store_b64 off, v[14:15], off offset:1012 ; 8-byte Folded Spill
	v_fma_f64 v[64:65], v[52:53], s[8:9], v[12:13]
	s_delay_alu instid0(VALU_DEP_1) | instskip(SKIP_1) | instid1(VALU_DEP_1)
	v_add_f64_e32 v[40:41], v[64:65], v[40:41]
	v_fma_f64 v[64:65], v[60:61], s[8:9], -v[14:15]
	v_add_f64_e32 v[42:43], v[64:65], v[42:43]
	v_mul_f64_e32 v[64:65], s[46:47], v[58:59]
	v_mul_f64_e32 v[58:59], s[36:37], v[58:59]
	s_delay_alu instid0(VALU_DEP_2) | instskip(SKIP_1) | instid1(VALU_DEP_2)
	v_fma_f64 v[66:67], v[52:53], s[16:17], -v[64:65]
	v_fma_f64 v[64:65], v[52:53], s[16:17], v[64:65]
	v_add_f64_e32 v[44:45], v[66:67], v[44:45]
	v_mul_f64_e32 v[66:67], s[46:47], v[56:57]
	s_delay_alu instid0(VALU_DEP_3) | instskip(SKIP_1) | instid1(VALU_DEP_3)
	v_add_f64_e32 v[48:49], v[64:65], v[48:49]
	v_mul_f64_e32 v[56:57], s[36:37], v[56:57]
	v_fma_f64 v[64:65], v[60:61], s[16:17], -v[66:67]
	v_fma_f64 v[68:69], v[60:61], s[16:17], v[66:67]
	s_delay_alu instid0(VALU_DEP_2) | instskip(SKIP_2) | instid1(VALU_DEP_4)
	v_add_f64_e32 v[50:51], v[64:65], v[50:51]
	v_fma_f64 v[64:65], v[52:53], s[22:23], -v[58:59]
	v_fma_f64 v[58:59], v[52:53], s[22:23], v[58:59]
	v_add_f64_e32 v[46:47], v[68:69], v[46:47]
	s_delay_alu instid0(VALU_DEP_3) | instskip(SKIP_1) | instid1(VALU_DEP_4)
	v_add_f64_e32 v[62:63], v[64:65], v[62:63]
	v_fma_f64 v[64:65], v[60:61], s[22:23], v[56:57]
	v_add_f64_e32 v[2:3], v[58:59], v[2:3]
	v_fma_f64 v[56:57], v[60:61], s[22:23], -v[56:57]
	v_add_f64_e64 v[58:59], v[142:143], -v[126:127]
	s_delay_alu instid0(VALU_DEP_4) | instskip(NEXT) | instid1(VALU_DEP_3)
	v_add_f64_e32 v[54:55], v[64:65], v[54:55]
	v_add_f64_e32 v[0:1], v[56:57], v[0:1]
	v_add_f64_e64 v[56:57], v[140:141], -v[124:125]
	s_delay_alu instid0(VALU_DEP_4) | instskip(NEXT) | instid1(VALU_DEP_2)
	v_mul_f64_e32 v[12:13], s[46:47], v[58:59]
	v_mul_f64_e32 v[14:15], s[46:47], v[56:57]
	s_delay_alu instid0(VALU_DEP_2)
	v_fma_f64 v[64:65], v[84:85], s[16:17], v[12:13]
	scratch_store_b64 off, v[12:13], off offset:988 ; 8-byte Folded Spill
	v_mul_f64_e32 v[12:13], s[42:43], v[58:59]
	v_add_f64_e32 v[4:5], v[64:65], v[4:5]
	v_fma_f64 v[64:65], v[90:91], s[16:17], -v[14:15]
	scratch_store_b64 off, v[12:13], off offset:1068 ; 8-byte Folded Spill
	v_add_f64_e32 v[6:7], v[64:65], v[6:7]
	v_fma_f64 v[64:65], v[84:85], s[24:25], v[12:13]
	v_mul_f64_e32 v[12:13], s[52:53], v[58:59]
	scratch_store_b64 off, v[14:15], off offset:996 ; 8-byte Folded Spill
	v_mul_f64_e32 v[14:15], s[42:43], v[56:57]
	v_add_f64_e32 v[8:9], v[64:65], v[8:9]
	s_delay_alu instid0(VALU_DEP_2)
	v_fma_f64 v[64:65], v[90:91], s[24:25], -v[14:15]
	scratch_store_b64 off, v[14:15], off offset:1076 ; 8-byte Folded Spill
	v_mul_f64_e32 v[14:15], s[52:53], v[56:57]
	scratch_store_b64 off, v[12:13], off offset:1052 ; 8-byte Folded Spill
	v_add_f64_e32 v[10:11], v[64:65], v[10:11]
	v_fma_f64 v[64:65], v[84:85], s[18:19], v[12:13]
	scratch_store_b64 off, v[14:15], off offset:1060 ; 8-byte Folded Spill
	v_mul_f64_e32 v[12:13], s[40:41], v[58:59]
	v_add_f64_e32 v[28:29], v[64:65], v[28:29]
	v_fma_f64 v[64:65], v[90:91], s[18:19], -v[14:15]
	v_mul_f64_e32 v[14:15], s[40:41], v[56:57]
	scratch_store_b64 off, v[12:13], off offset:1036 ; 8-byte Folded Spill
	v_add_f64_e32 v[30:31], v[64:65], v[30:31]
	scratch_store_b64 off, v[14:15], off offset:1044 ; 8-byte Folded Spill
	v_fma_f64 v[64:65], v[84:85], s[8:9], v[12:13]
	v_mul_f64_e32 v[12:13], s[54:55], v[58:59]
	s_delay_alu instid0(VALU_DEP_2)
	v_add_f64_e32 v[32:33], v[64:65], v[32:33]
	v_fma_f64 v[64:65], v[90:91], s[8:9], -v[14:15]
	v_mul_f64_e32 v[14:15], s[54:55], v[56:57]
	scratch_store_b64 off, v[12:13], off offset:1020 ; 8-byte Folded Spill
	v_add_f64_e32 v[34:35], v[64:65], v[34:35]
	v_fma_f64 v[64:65], v[84:85], s[14:15], v[12:13]
	v_mul_f64_e32 v[12:13], s[36:37], v[58:59]
	scratch_store_b64 off, v[14:15], off offset:1028 ; 8-byte Folded Spill
	v_add_f64_e32 v[36:37], v[64:65], v[36:37]
	v_fma_f64 v[64:65], v[90:91], s[14:15], -v[14:15]
	v_mul_f64_e32 v[14:15], s[36:37], v[56:57]
	scratch_store_b64 off, v[12:13], off offset:1100 ; 8-byte Folded Spill
	v_add_f64_e32 v[38:39], v[64:65], v[38:39]
	scratch_store_b64 off, v[14:15], off offset:1108 ; 8-byte Folded Spill
	v_fma_f64 v[64:65], v[84:85], s[22:23], v[12:13]
	s_delay_alu instid0(VALU_DEP_1) | instskip(SKIP_1) | instid1(VALU_DEP_1)
	v_add_f64_e32 v[40:41], v[64:65], v[40:41]
	v_fma_f64 v[64:65], v[90:91], s[22:23], -v[14:15]
	v_add_f64_e32 v[42:43], v[64:65], v[42:43]
	v_mul_f64_e32 v[64:65], s[50:51], v[58:59]
	v_mul_f64_e32 v[58:59], s[38:39], v[58:59]
	s_delay_alu instid0(VALU_DEP_2) | instskip(SKIP_1) | instid1(VALU_DEP_2)
	v_fma_f64 v[66:67], v[84:85], s[20:21], -v[64:65]
	v_fma_f64 v[64:65], v[84:85], s[20:21], v[64:65]
	v_add_f64_e32 v[44:45], v[66:67], v[44:45]
	v_mul_f64_e32 v[66:67], s[50:51], v[56:57]
	s_delay_alu instid0(VALU_DEP_3) | instskip(SKIP_1) | instid1(VALU_DEP_3)
	v_add_f64_e32 v[48:49], v[64:65], v[48:49]
	v_mul_f64_e32 v[56:57], s[38:39], v[56:57]
	v_fma_f64 v[64:65], v[90:91], s[20:21], -v[66:67]
	v_fma_f64 v[68:69], v[90:91], s[20:21], v[66:67]
	s_delay_alu instid0(VALU_DEP_2) | instskip(SKIP_2) | instid1(VALU_DEP_4)
	v_add_f64_e32 v[50:51], v[64:65], v[50:51]
	v_fma_f64 v[64:65], v[84:85], s[2:3], -v[58:59]
	v_fma_f64 v[58:59], v[84:85], s[2:3], v[58:59]
	v_add_f64_e32 v[46:47], v[68:69], v[46:47]
	s_delay_alu instid0(VALU_DEP_3) | instskip(SKIP_1) | instid1(VALU_DEP_4)
	v_add_f64_e32 v[62:63], v[64:65], v[62:63]
	v_fma_f64 v[64:65], v[90:91], s[2:3], v[56:57]
	v_add_f64_e32 v[2:3], v[58:59], v[2:3]
	v_fma_f64 v[56:57], v[90:91], s[2:3], -v[56:57]
	v_add_f64_e64 v[58:59], v[80:81], -v[130:131]
	s_delay_alu instid0(VALU_DEP_4) | instskip(NEXT) | instid1(VALU_DEP_3)
	v_add_f64_e32 v[54:55], v[64:65], v[54:55]
	v_add_f64_e32 v[0:1], v[56:57], v[0:1]
	v_add_f64_e64 v[56:57], v[78:79], -v[128:129]
	s_delay_alu instid0(VALU_DEP_4) | instskip(NEXT) | instid1(VALU_DEP_2)
	v_mul_f64_e32 v[12:13], s[26:27], v[58:59]
	v_mul_f64_e32 v[14:15], s[26:27], v[56:57]
	s_delay_alu instid0(VALU_DEP_2)
	v_fma_f64 v[64:65], v[246:247], s[18:19], v[12:13]
	scratch_store_b64 off, v[12:13], off offset:1084 ; 8-byte Folded Spill
	v_mul_f64_e32 v[12:13], s[56:57], v[58:59]
	v_add_f64_e32 v[4:5], v[64:65], v[4:5]
	v_fma_f64 v[64:65], v[248:249], s[18:19], -v[14:15]
	scratch_store_b64 off, v[12:13], off offset:1164 ; 8-byte Folded Spill
	v_add_f64_e32 v[6:7], v[64:65], v[6:7]
	v_fma_f64 v[64:65], v[246:247], s[22:23], v[12:13]
	v_mul_f64_e32 v[12:13], s[38:39], v[58:59]
	scratch_store_b64 off, v[14:15], off offset:1092 ; 8-byte Folded Spill
	v_mul_f64_e32 v[14:15], s[56:57], v[56:57]
	v_add_f64_e32 v[8:9], v[64:65], v[8:9]
	s_delay_alu instid0(VALU_DEP_2)
	v_fma_f64 v[64:65], v[248:249], s[22:23], -v[14:15]
	scratch_store_b64 off, v[14:15], off offset:1172 ; 8-byte Folded Spill
	v_mul_f64_e32 v[14:15], s[38:39], v[56:57]
	scratch_store_b64 off, v[12:13], off offset:1148 ; 8-byte Folded Spill
	v_add_f64_e32 v[10:11], v[64:65], v[10:11]
	v_fma_f64 v[64:65], v[246:247], s[2:3], v[12:13]
	scratch_store_b64 off, v[14:15], off offset:1156 ; 8-byte Folded Spill
	v_mul_f64_e32 v[12:13], s[54:55], v[58:59]
	v_add_f64_e32 v[28:29], v[64:65], v[28:29]
	v_fma_f64 v[64:65], v[248:249], s[2:3], -v[14:15]
	v_mul_f64_e32 v[14:15], s[54:55], v[56:57]
	scratch_store_b64 off, v[12:13], off offset:1132 ; 8-byte Folded Spill
	v_add_f64_e32 v[30:31], v[64:65], v[30:31]
	scratch_store_b64 off, v[14:15], off offset:1140 ; 8-byte Folded Spill
	v_fma_f64 v[64:65], v[246:247], s[14:15], v[12:13]
	v_mul_f64_e32 v[12:13], s[42:43], v[58:59]
	s_delay_alu instid0(VALU_DEP_2)
	v_add_f64_e32 v[32:33], v[64:65], v[32:33]
	v_fma_f64 v[64:65], v[248:249], s[14:15], -v[14:15]
	v_mul_f64_e32 v[14:15], s[42:43], v[56:57]
	scratch_store_b64 off, v[12:13], off offset:1116 ; 8-byte Folded Spill
	v_add_f64_e32 v[34:35], v[64:65], v[34:35]
	v_fma_f64 v[64:65], v[246:247], s[24:25], v[12:13]
	v_mul_f64_e32 v[12:13], s[30:31], v[58:59]
	scratch_store_b64 off, v[14:15], off offset:1124 ; 8-byte Folded Spill
	v_add_f64_e32 v[36:37], v[64:65], v[36:37]
	v_fma_f64 v[64:65], v[248:249], s[24:25], -v[14:15]
	v_mul_f64_e32 v[14:15], s[30:31], v[56:57]
	scratch_store_b64 off, v[12:13], off offset:1196 ; 8-byte Folded Spill
	v_add_f64_e32 v[38:39], v[64:65], v[38:39]
	scratch_store_b64 off, v[14:15], off offset:1204 ; 8-byte Folded Spill
	v_fma_f64 v[64:65], v[246:247], s[16:17], v[12:13]
	s_delay_alu instid0(VALU_DEP_1) | instskip(SKIP_1) | instid1(VALU_DEP_1)
	v_add_f64_e32 v[40:41], v[64:65], v[40:41]
	v_fma_f64 v[64:65], v[248:249], s[16:17], -v[14:15]
	v_add_f64_e32 v[64:65], v[64:65], v[42:43]
	v_mul_f64_e32 v[42:43], s[44:45], v[58:59]
	s_delay_alu instid0(VALU_DEP_1) | instskip(SKIP_1) | instid1(VALU_DEP_2)
	v_fma_f64 v[66:67], v[246:247], s[8:9], -v[42:43]
	v_fma_f64 v[42:43], v[246:247], s[8:9], v[42:43]
	v_add_f64_e32 v[66:67], v[66:67], v[44:45]
	v_mul_f64_e32 v[44:45], s[44:45], v[56:57]
	s_delay_alu instid0(VALU_DEP_3) | instskip(NEXT) | instid1(VALU_DEP_2)
	v_add_f64_e32 v[48:49], v[42:43], v[48:49]
	v_fma_f64 v[42:43], v[248:249], s[8:9], -v[44:45]
	v_fma_f64 v[68:69], v[248:249], s[8:9], v[44:45]
	s_delay_alu instid0(VALU_DEP_2) | instskip(SKIP_1) | instid1(VALU_DEP_3)
	v_add_f64_e32 v[50:51], v[42:43], v[50:51]
	v_mul_f64_e32 v[42:43], s[28:29], v[58:59]
	v_add_f64_e32 v[46:47], v[68:69], v[46:47]
	s_delay_alu instid0(VALU_DEP_2) | instskip(SKIP_1) | instid1(VALU_DEP_2)
	v_fma_f64 v[44:45], v[246:247], s[20:21], -v[42:43]
	v_fma_f64 v[42:43], v[246:247], s[20:21], v[42:43]
	v_add_f64_e32 v[58:59], v[44:45], v[62:63]
	v_mul_f64_e32 v[44:45], s[28:29], v[56:57]
	s_delay_alu instid0(VALU_DEP_3) | instskip(SKIP_1) | instid1(VALU_DEP_3)
	v_add_f64_e32 v[2:3], v[42:43], v[2:3]
	v_add_f64_e64 v[62:63], v[154:155], -v[134:135]
	v_fma_f64 v[56:57], v[248:249], s[20:21], v[44:45]
	v_fma_f64 v[42:43], v[248:249], s[20:21], -v[44:45]
	s_delay_alu instid0(VALU_DEP_3)
	v_mul_f64_e32 v[12:13], s[28:29], v[62:63]
	v_add_f64_e32 v[44:45], v[154:155], v[134:135]
	v_mul_f64_e32 v[228:229], s[52:53], v[62:63]
	v_mul_f64_e32 v[180:181], s[44:45], v[62:63]
	;; [unrolled: 1-line block ×4, first 2 shown]
	v_add_f64_e32 v[54:55], v[56:57], v[54:55]
	v_add_f64_e32 v[0:1], v[42:43], v[0:1]
	;; [unrolled: 1-line block ×3, first 2 shown]
	v_add_f64_e64 v[56:57], v[152:153], -v[132:133]
	s_delay_alu instid0(VALU_DEP_2) | instskip(NEXT) | instid1(VALU_DEP_2)
	v_fma_f64 v[68:69], v[42:43], s[20:21], v[12:13]
	v_mul_f64_e32 v[14:15], s[28:29], v[56:57]
	v_mul_f64_e32 v[230:231], s[52:53], v[56:57]
	;; [unrolled: 1-line block ×4, first 2 shown]
	scratch_store_b64 off, v[12:13], off offset:1180 ; 8-byte Folded Spill
	v_mul_f64_e32 v[12:13], s[30:31], v[56:57]
	v_mul_f64_e32 v[242:243], s[48:49], v[56:57]
	v_add_f64_e32 v[4:5], v[68:69], v[4:5]
	v_fma_f64 v[68:69], v[44:45], s[20:21], -v[14:15]
	scratch_store_b64 off, v[12:13], off offset:1220 ; 8-byte Folded Spill
	v_add_f64_e32 v[6:7], v[68:69], v[6:7]
	v_fma_f64 v[68:69], v[42:43], s[18:19], v[228:229]
	s_delay_alu instid0(VALU_DEP_1) | instskip(SKIP_1) | instid1(VALU_DEP_1)
	v_add_f64_e32 v[68:69], v[68:69], v[8:9]
	v_fma_f64 v[8:9], v[44:45], s[18:19], -v[230:231]
	v_add_f64_e32 v[10:11], v[8:9], v[10:11]
	v_fma_f64 v[8:9], v[42:43], s[8:9], v[180:181]
	s_delay_alu instid0(VALU_DEP_1) | instskip(SKIP_1) | instid1(VALU_DEP_1)
	v_add_f64_e32 v[92:93], v[8:9], v[28:29]
	v_fma_f64 v[8:9], v[44:45], s[8:9], -v[182:183]
	;; [unrolled: 5-line block ×3, first 2 shown]
	v_add_f64_e32 v[34:35], v[8:9], v[34:35]
	v_mul_f64_e32 v[8:9], s[30:31], v[62:63]
	s_clause 0x1
	scratch_store_b64 off, v[14:15], off offset:1188
	scratch_store_b64 off, v[8:9], off offset:1212
	v_fma_f64 v[28:29], v[42:43], s[16:17], v[8:9]
	s_delay_alu instid0(VALU_DEP_1) | instskip(SKIP_1) | instid1(VALU_DEP_1)
	v_add_f64_e32 v[36:37], v[28:29], v[36:37]
	v_fma_f64 v[28:29], v[44:45], s[16:17], -v[12:13]
	v_add_f64_e32 v[38:39], v[28:29], v[38:39]
	v_fma_f64 v[28:29], v[42:43], s[2:3], v[238:239]
	s_delay_alu instid0(VALU_DEP_1) | instskip(SKIP_1) | instid1(VALU_DEP_1)
	v_add_f64_e32 v[40:41], v[28:29], v[40:41]
	v_fma_f64 v[28:29], v[44:45], s[2:3], -v[242:243]
	v_add_f64_e32 v[64:65], v[28:29], v[64:65]
	v_mul_f64_e32 v[28:29], s[42:43], v[62:63]
	s_delay_alu instid0(VALU_DEP_1) | instskip(SKIP_1) | instid1(VALU_DEP_2)
	v_fma_f64 v[30:31], v[42:43], s[24:25], -v[28:29]
	v_fma_f64 v[28:29], v[42:43], s[24:25], v[28:29]
	v_add_f64_e32 v[66:67], v[30:31], v[66:67]
	v_mul_f64_e32 v[30:31], s[42:43], v[56:57]
	s_delay_alu instid0(VALU_DEP_3) | instskip(NEXT) | instid1(VALU_DEP_2)
	v_add_f64_e32 v[48:49], v[28:29], v[48:49]
	v_fma_f64 v[28:29], v[44:45], s[24:25], -v[30:31]
	v_fma_f64 v[74:75], v[44:45], s[24:25], v[30:31]
	s_delay_alu instid0(VALU_DEP_2) | instskip(SKIP_1) | instid1(VALU_DEP_3)
	v_add_f64_e32 v[50:51], v[28:29], v[50:51]
	v_mul_f64_e32 v[28:29], s[34:35], v[62:63]
	v_add_f64_e32 v[46:47], v[74:75], v[46:47]
	v_add_f64_e32 v[74:75], v[160:161], v[156:157]
	s_delay_alu instid0(VALU_DEP_3) | instskip(SKIP_1) | instid1(VALU_DEP_2)
	v_fma_f64 v[30:31], v[42:43], s[14:15], -v[28:29]
	v_fma_f64 v[28:29], v[42:43], s[14:15], v[28:29]
	v_add_f64_e32 v[58:59], v[30:31], v[58:59]
	v_mul_f64_e32 v[30:31], s[34:35], v[56:57]
	s_delay_alu instid0(VALU_DEP_1) | instskip(NEXT) | instid1(VALU_DEP_1)
	v_fma_f64 v[56:57], v[44:45], s[14:15], v[30:31]
	v_add_f64_e32 v[54:55], v[56:57], v[54:55]
	v_add_f64_e32 v[56:57], v[28:29], v[2:3]
	v_fma_f64 v[2:3], v[44:45], s[14:15], -v[30:31]
	v_mul_f64_e32 v[28:29], s[34:35], v[100:101]
	v_mul_f64_e32 v[30:31], s[34:35], v[102:103]
	s_delay_alu instid0(VALU_DEP_3) | instskip(SKIP_2) | instid1(VALU_DEP_2)
	v_add_f64_e32 v[104:105], v[2:3], v[0:1]
	v_fma_f64 v[0:1], v[74:75], s[22:23], v[232:233]
	v_mul_f64_e32 v[2:3], s[46:47], v[102:103]
	v_add_f64_e32 v[4:5], v[0:1], v[4:5]
	v_fma_f64 v[0:1], v[76:77], s[22:23], -v[234:235]
	s_delay_alu instid0(VALU_DEP_1) | instskip(SKIP_1) | instid1(VALU_DEP_1)
	v_add_f64_e32 v[70:71], v[0:1], v[6:7]
	v_fma_f64 v[0:1], v[74:75], s[14:15], v[28:29]
	v_add_f64_e32 v[12:13], v[0:1], v[68:69]
	v_fma_f64 v[0:1], v[76:77], s[14:15], -v[30:31]
	s_delay_alu instid0(VALU_DEP_1) | instskip(SKIP_1) | instid1(VALU_DEP_1)
	v_add_f64_e32 v[14:15], v[0:1], v[10:11]
	v_mul_f64_e32 v[0:1], s[46:47], v[100:101]
	v_fma_f64 v[6:7], v[74:75], s[16:17], v[0:1]
	s_delay_alu instid0(VALU_DEP_1) | instskip(SKIP_1) | instid1(VALU_DEP_1)
	v_add_f64_e32 v[72:73], v[6:7], v[92:93]
	v_fma_f64 v[6:7], v[76:77], s[16:17], -v[2:3]
	v_add_f64_e32 v[88:89], v[6:7], v[94:95]
	v_fma_f64 v[6:7], v[74:75], s[20:21], v[252:253]
	s_delay_alu instid0(VALU_DEP_1) | instskip(SKIP_1) | instid1(VALU_DEP_1)
	v_add_f64_e32 v[8:9], v[6:7], v[32:33]
	v_fma_f64 v[6:7], v[76:77], s[20:21], -v[254:255]
	v_add_f64_e32 v[82:83], v[6:7], v[34:35]
	v_fma_f64 v[6:7], v[74:75], s[8:9], v[244:245]
	s_delay_alu instid0(VALU_DEP_1) | instskip(SKIP_2) | instid1(VALU_DEP_2)
	v_add_f64_e32 v[62:63], v[6:7], v[36:37]
	v_fma_f64 v[6:7], v[76:77], s[8:9], -v[250:251]
	v_mul_f64_e32 v[36:37], s[42:43], v[100:101]
	v_add_f64_e32 v[6:7], v[6:7], v[38:39]
	v_mul_f64_e32 v[38:39], s[42:43], v[102:103]
	s_delay_alu instid0(VALU_DEP_3) | instskip(NEXT) | instid1(VALU_DEP_2)
	v_fma_f64 v[10:11], v[74:75], s[24:25], v[36:37]
	v_fma_f64 v[32:33], v[76:77], s[24:25], -v[38:39]
	s_delay_alu instid0(VALU_DEP_2) | instskip(NEXT) | instid1(VALU_DEP_2)
	v_add_f64_e32 v[10:11], v[10:11], v[40:41]
	v_add_f64_e32 v[68:69], v[32:33], v[64:65]
	v_mul_f64_e32 v[32:33], s[38:39], v[100:101]
	s_delay_alu instid0(VALU_DEP_1) | instskip(SKIP_1) | instid1(VALU_DEP_2)
	v_fma_f64 v[34:35], v[74:75], s[2:3], -v[32:33]
	v_fma_f64 v[32:33], v[74:75], s[2:3], v[32:33]
	v_add_f64_e32 v[64:65], v[34:35], v[66:67]
	v_mul_f64_e32 v[34:35], s[38:39], v[102:103]
	s_delay_alu instid0(VALU_DEP_3) | instskip(SKIP_1) | instid1(VALU_DEP_3)
	v_add_f64_e32 v[96:97], v[32:33], v[48:49]
	v_mul_f64_e32 v[48:49], s[36:37], v[106:107]
	v_fma_f64 v[32:33], v[76:77], s[2:3], -v[34:35]
	v_fma_f64 v[40:41], v[76:77], s[2:3], v[34:35]
	s_delay_alu instid0(VALU_DEP_2) | instskip(SKIP_1) | instid1(VALU_DEP_3)
	v_add_f64_e32 v[98:99], v[32:33], v[50:51]
	v_mul_f64_e32 v[32:33], s[26:27], v[100:101]
	v_add_f64_e32 v[66:67], v[40:41], v[46:47]
	s_delay_alu instid0(VALU_DEP_2) | instskip(SKIP_1) | instid1(VALU_DEP_2)
	v_fma_f64 v[34:35], v[74:75], s[18:19], -v[32:33]
	v_fma_f64 v[32:33], v[74:75], s[18:19], v[32:33]
	v_add_f64_e32 v[100:101], v[34:35], v[58:59]
	v_mul_f64_e32 v[34:35], s[26:27], v[102:103]
	s_delay_alu instid0(VALU_DEP_3) | instskip(SKIP_1) | instid1(VALU_DEP_3)
	v_add_f64_e32 v[94:95], v[32:33], v[56:57]
	v_mul_f64_e32 v[58:59], s[28:29], v[106:107]
	v_fma_f64 v[32:33], v[76:77], s[18:19], -v[34:35]
	v_fma_f64 v[40:41], v[76:77], s[18:19], v[34:35]
	s_delay_alu instid0(VALU_DEP_2) | instskip(SKIP_2) | instid1(VALU_DEP_4)
	v_add_f64_e32 v[92:93], v[32:33], v[104:105]
	v_add_f64_e64 v[104:105], v[168:169], -v[172:173]
	v_mul_f64_e32 v[32:33], s[42:43], v[106:107]
	v_add_f64_e32 v[102:103], v[40:41], v[54:55]
	v_mul_f64_e32 v[54:55], s[38:39], v[106:107]
	s_delay_alu instid0(VALU_DEP_4) | instskip(NEXT) | instid1(VALU_DEP_4)
	v_mul_f64_e32 v[34:35], s[42:43], v[104:105]
	v_fma_f64 v[40:41], v[236:237], s[24:25], v[32:33]
	v_mul_f64_e32 v[46:47], s[40:41], v[104:105]
	v_mul_f64_e32 v[50:51], s[36:37], v[104:105]
	;; [unrolled: 1-line block ×3, first 2 shown]
	s_delay_alu instid0(VALU_DEP_4) | instskip(SKIP_2) | instid1(VALU_DEP_2)
	v_add_f64_e32 v[214:215], v[40:41], v[4:5]
	v_fma_f64 v[4:5], v[240:241], s[24:25], -v[34:35]
	v_mul_f64_e32 v[40:41], s[40:41], v[106:107]
	v_add_f64_e32 v[216:217], v[4:5], v[70:71]
	s_delay_alu instid0(VALU_DEP_2) | instskip(NEXT) | instid1(VALU_DEP_1)
	v_fma_f64 v[4:5], v[236:237], s[8:9], v[40:41]
	v_add_f64_e32 v[219:220], v[4:5], v[12:13]
	v_fma_f64 v[4:5], v[240:241], s[8:9], -v[46:47]
	s_delay_alu instid0(VALU_DEP_1) | instskip(SKIP_1) | instid1(VALU_DEP_1)
	v_add_f64_e32 v[221:222], v[4:5], v[14:15]
	v_fma_f64 v[4:5], v[236:237], s[22:23], v[48:49]
	v_add_f64_e32 v[70:71], v[4:5], v[72:73]
	v_fma_f64 v[4:5], v[240:241], s[22:23], -v[50:51]
	s_delay_alu instid0(VALU_DEP_1) | instskip(SKIP_1) | instid1(VALU_DEP_1)
	v_add_f64_e32 v[72:73], v[4:5], v[88:89]
	v_fma_f64 v[4:5], v[236:237], s[2:3], v[54:55]
	v_add_f64_e32 v[12:13], v[4:5], v[8:9]
	v_fma_f64 v[4:5], v[240:241], s[2:3], -v[56:57]
	v_fma_f64 v[8:9], v[236:237], s[20:21], v[58:59]
	s_delay_alu instid0(VALU_DEP_2)
	v_add_f64_e32 v[14:15], v[4:5], v[82:83]
	v_mul_f64_e32 v[4:5], s[28:29], v[104:105]
	scratch_store_b128 off, v[12:15], off offset:12 ; 16-byte Folded Spill
	v_add_f64_e32 v[12:13], v[8:9], v[62:63]
	v_fma_f64 v[8:9], v[240:241], s[20:21], -v[4:5]
	v_mul_f64_e32 v[62:63], s[34:35], v[104:105]
	s_delay_alu instid0(VALU_DEP_2) | instskip(SKIP_3) | instid1(VALU_DEP_1)
	v_add_f64_e32 v[14:15], v[8:9], v[6:7]
	v_mul_f64_e32 v[6:7], s[34:35], v[106:107]
	scratch_store_b128 off, v[12:15], off offset:28 ; 16-byte Folded Spill
	v_fma_f64 v[8:9], v[236:237], s[14:15], v[6:7]
	v_add_f64_e32 v[10:11], v[8:9], v[10:11]
	v_fma_f64 v[8:9], v[240:241], s[14:15], -v[62:63]
	s_delay_alu instid0(VALU_DEP_1) | instskip(SKIP_4) | instid1(VALU_DEP_2)
	v_add_f64_e32 v[12:13], v[8:9], v[68:69]
	v_mul_f64_e32 v[8:9], s[26:27], v[106:107]
	scratch_store_b128 off, v[10:13], off offset:44 ; 16-byte Folded Spill
	v_fma_f64 v[10:11], v[236:237], s[18:19], -v[8:9]
	v_fma_f64 v[8:9], v[236:237], s[18:19], v[8:9]
	v_add_f64_e32 v[64:65], v[10:11], v[64:65]
	v_mul_f64_e32 v[10:11], s[26:27], v[104:105]
	s_delay_alu instid0(VALU_DEP_1) | instskip(NEXT) | instid1(VALU_DEP_1)
	v_fma_f64 v[12:13], v[240:241], s[18:19], v[10:11]
	v_add_f64_e32 v[66:67], v[12:13], v[66:67]
	v_add_f64_e32 v[12:13], v[8:9], v[96:97]
	v_fma_f64 v[8:9], v[240:241], s[18:19], -v[10:11]
	s_delay_alu instid0(VALU_DEP_1)
	v_add_f64_e32 v[14:15], v[8:9], v[98:99]
	v_mul_f64_e32 v[8:9], s[30:31], v[106:107]
	s_clause 0x1
	scratch_store_b128 off, v[64:67], off offset:60
	scratch_store_b128 off, v[12:15], off offset:76
	v_fma_f64 v[10:11], v[236:237], s[16:17], -v[8:9]
	v_fma_f64 v[8:9], v[236:237], s[16:17], v[8:9]
	s_delay_alu instid0(VALU_DEP_2) | instskip(SKIP_1) | instid1(VALU_DEP_1)
	v_add_f64_e32 v[64:65], v[10:11], v[100:101]
	v_mul_f64_e32 v[10:11], s[30:31], v[104:105]
	v_fma_f64 v[12:13], v[240:241], s[16:17], v[10:11]
	s_delay_alu instid0(VALU_DEP_1) | instskip(SKIP_2) | instid1(VALU_DEP_1)
	v_add_f64_e32 v[66:67], v[12:13], v[102:103]
	v_add_f64_e32 v[12:13], v[8:9], v[94:95]
	v_fma_f64 v[8:9], v[240:241], s[16:17], -v[10:11]
	v_add_f64_e32 v[14:15], v[8:9], v[92:93]
	scratch_store_b128 off, v[64:67], off offset:92 ; 16-byte Folded Spill
	v_mul_lo_u16 v8, v165, 17
	v_lshlrev_b32_e32 v9, 4, v227
	s_delay_alu instid0(VALU_DEP_2)
	v_and_b32_e32 v8, 0xffff, v8
	scratch_store_b128 off, v[12:15], off offset:108 ; 16-byte Folded Spill
	global_wb scope:SCOPE_SE
	s_wait_storecnt 0x0
	s_wait_kmcnt 0x0
	s_barrier_signal -1
	s_barrier_wait -1
	global_inv scope:SCOPE_SE
	scratch_load_b128 v[10:13], off, off offset:420 th:TH_LOAD_LU ; 16-byte Folded Reload
	scratch_store_b32 off, v165, off offset:8 ; 4-byte Folded Spill
	v_lshl_add_u32 v165, v8, 4, v9
	s_wait_loadcnt 0x0
	ds_store_b128 v165, v[10:13]
	scratch_load_b128 v[10:13], off, off offset:452 th:TH_LOAD_LU ; 16-byte Folded Reload
	s_wait_loadcnt 0x0
	ds_store_b128 v165, v[10:13] offset:16
	scratch_load_b128 v[10:13], off, off offset:484 th:TH_LOAD_LU ; 16-byte Folded Reload
	s_wait_loadcnt 0x0
	ds_store_b128 v165, v[10:13] offset:32
	scratch_load_b128 v[10:13], off, off offset:516 th:TH_LOAD_LU ; 16-byte Folded Reload
	s_wait_loadcnt 0x0
	ds_store_b128 v165, v[10:13] offset:48
	ds_store_b128 v165, v[188:191] offset:64
	ds_store_b128 v165, v[196:199] offset:80
	ds_store_b128 v165, v[200:203] offset:96
	ds_store_b128 v165, v[208:211] offset:112
	ds_store_b128 v165, v[176:179] offset:128
	ds_store_b128 v165, v[223:226] offset:144
	v_mov_b32_e32 v226, v73
	ds_store_b128 v165, v[16:19] offset:160
	ds_store_b128 v165, v[204:207] offset:176
	;; [unrolled: 1-line block ×4, first 2 shown]
	scratch_load_b128 v[10:13], off, off offset:500 th:TH_LOAD_LU ; 16-byte Folded Reload
	v_dual_mov_b32 v225, v72 :: v_dual_mov_b32 v224, v71
	v_dual_mov_b32 v223, v70 :: v_dual_mov_b32 v166, v9
	s_wait_loadcnt 0x0
	ds_store_b128 v165, v[10:13] offset:224
	scratch_load_b128 v[10:13], off, off offset:468 th:TH_LOAD_LU ; 16-byte Folded Reload
	s_wait_loadcnt 0x0
	ds_store_b128 v165, v[10:13] offset:240
	scratch_load_b128 v[10:13], off, off offset:436 th:TH_LOAD_LU ; 16-byte Folded Reload
	s_wait_loadcnt 0x0
	ds_store_b128 v165, v[10:13] offset:256
	s_and_saveexec_b32 s26, vcc_lo
	s_cbranch_execz .LBB0_7
; %bb.6:
	v_add_f64_e32 v[8:9], v[138:139], v[110:111]
	s_clause 0x7
	scratch_load_b64 v[14:15], off, off offset:740 th:TH_LOAD_LU
	scratch_load_b64 v[96:97], off, off offset:1004 th:TH_LOAD_LU
	;; [unrolled: 1-line block ×8, first 2 shown]
	v_add_f64_e32 v[10:11], v[136:137], v[108:109]
	s_clause 0x6
	scratch_load_b64 v[70:71], off, off offset:644 th:TH_LOAD_LU
	scratch_load_b64 v[72:73], off, off offset:628 th:TH_LOAD_LU
	;; [unrolled: 1-line block ×7, first 2 shown]
	v_add_f64_e32 v[8:9], v[146:147], v[8:9]
	v_add_f64_e32 v[10:11], v[144:145], v[10:11]
	s_delay_alu instid0(VALU_DEP_2) | instskip(NEXT) | instid1(VALU_DEP_2)
	v_add_f64_e32 v[8:9], v[150:151], v[8:9]
	v_add_f64_e32 v[10:11], v[148:149], v[10:11]
	s_delay_alu instid0(VALU_DEP_2) | instskip(NEXT) | instid1(VALU_DEP_2)
	v_add_f64_e32 v[8:9], v[142:143], v[8:9]
	v_add_f64_e32 v[10:11], v[140:141], v[10:11]
	s_delay_alu instid0(VALU_DEP_2)
	v_add_f64_e32 v[8:9], v[80:81], v[8:9]
	scratch_load_b64 v[80:81], off, off offset:596 th:TH_LOAD_LU ; 8-byte Folded Reload
	v_add_f64_e32 v[10:11], v[78:79], v[10:11]
	scratch_load_b64 v[78:79], off, off offset:612 th:TH_LOAD_LU ; 8-byte Folded Reload
	v_add_f64_e32 v[8:9], v[154:155], v[8:9]
	v_add_f64_e32 v[10:11], v[152:153], v[10:11]
	s_delay_alu instid0(VALU_DEP_2) | instskip(NEXT) | instid1(VALU_DEP_2)
	v_add_f64_e32 v[8:9], v[162:163], v[8:9]
	v_add_f64_e32 v[10:11], v[160:161], v[10:11]
	s_delay_alu instid0(VALU_DEP_2) | instskip(NEXT) | instid1(VALU_DEP_2)
	;; [unrolled: 3-line block ×9, first 2 shown]
	v_add_f64_e32 v[8:9], v[118:119], v[8:9]
	v_add_f64_e32 v[10:11], v[116:117], v[10:11]
	s_delay_alu instid0(VALU_DEP_2) | instskip(SKIP_1) | instid1(VALU_DEP_3)
	v_add_f64_e32 v[12:13], v[114:115], v[8:9]
	v_mul_f64_e32 v[8:9], s[20:21], v[22:23]
	v_add_f64_e32 v[10:11], v[112:113], v[10:11]
	s_wait_loadcnt 0x10
	s_delay_alu instid0(VALU_DEP_2) | instskip(SKIP_1) | instid1(VALU_DEP_2)
	v_add_f64_e32 v[8:9], v[14:15], v[8:9]
	v_mul_f64_e32 v[14:15], s[20:21], v[20:21]
	v_add_f64_e32 v[8:9], v[8:9], v[110:111]
	s_wait_loadcnt 0xd
	s_delay_alu instid0(VALU_DEP_2) | instskip(SKIP_1) | instid1(VALU_DEP_2)
	v_add_f64_e64 v[14:15], v[14:15], -v[16:17]
	v_mul_f64_e32 v[16:17], s[18:19], v[22:23]
	v_add_f64_e32 v[14:15], v[14:15], v[108:109]
	s_wait_loadcnt 0xc
	s_delay_alu instid0(VALU_DEP_2) | instskip(SKIP_2) | instid1(VALU_DEP_1)
	v_add_f64_e32 v[16:17], v[18:19], v[16:17]
	v_mul_f64_e32 v[18:19], s[18:19], v[20:21]
	s_wait_loadcnt 0xb
	v_add_f64_e64 v[18:19], v[18:19], -v[64:65]
	v_mul_f64_e32 v[64:65], s[16:17], v[22:23]
	s_delay_alu instid0(VALU_DEP_2) | instskip(SKIP_1) | instid1(VALU_DEP_2)
	v_add_f64_e32 v[82:83], v[18:19], v[108:109]
	s_wait_loadcnt 0xa
	v_add_f64_e32 v[64:65], v[66:67], v[64:65]
	v_mul_f64_e32 v[66:67], s[16:17], v[20:21]
	s_delay_alu instid0(VALU_DEP_2) | instskip(SKIP_1) | instid1(VALU_DEP_2)
	v_add_f64_e32 v[64:65], v[64:65], v[110:111]
	s_wait_loadcnt 0x9
	v_add_f64_e64 v[66:67], v[66:67], -v[68:69]
	v_mul_f64_e32 v[68:69], s[14:15], v[22:23]
	s_delay_alu instid0(VALU_DEP_2) | instskip(SKIP_1) | instid1(VALU_DEP_2)
	v_add_f64_e32 v[66:67], v[66:67], v[108:109]
	s_wait_loadcnt 0x8
	v_add_f64_e32 v[68:69], v[70:71], v[68:69]
	v_mul_f64_e32 v[70:71], s[14:15], v[20:21]
	s_delay_alu instid0(VALU_DEP_2) | instskip(SKIP_1) | instid1(VALU_DEP_2)
	v_add_f64_e32 v[68:69], v[68:69], v[110:111]
	s_wait_loadcnt 0x7
	v_add_f64_e64 v[70:71], v[70:71], -v[72:73]
	v_mul_f64_e32 v[72:73], s[2:3], v[22:23]
	v_mul_f64_e32 v[22:23], s[8:9], v[22:23]
	s_delay_alu instid0(VALU_DEP_3) | instskip(SKIP_1) | instid1(VALU_DEP_3)
	v_add_f64_e32 v[70:71], v[70:71], v[108:109]
	s_wait_loadcnt 0x0
	v_add_f64_e32 v[72:73], v[78:79], v[72:73]
	v_mul_f64_e32 v[78:79], s[2:3], v[20:21]
	v_mul_f64_e32 v[20:21], s[8:9], v[20:21]
	s_delay_alu instid0(VALU_DEP_3) | instskip(NEXT) | instid1(VALU_DEP_3)
	v_add_f64_e32 v[18:19], v[72:73], v[110:111]
	v_add_f64_e64 v[78:79], v[78:79], -v[80:81]
	scratch_load_b64 v[80:81], off, off offset:580 th:TH_LOAD_LU ; 8-byte Folded Reload
	v_add_f64_e32 v[72:73], v[78:79], v[108:109]
	s_wait_loadcnt 0x0
	v_add_f64_e32 v[22:23], v[80:81], v[22:23]
	scratch_load_b64 v[80:81], off, off offset:564 th:TH_LOAD_LU ; 8-byte Folded Reload
	v_add_f64_e32 v[22:23], v[22:23], v[110:111]
	s_wait_loadcnt 0x0
	v_add_f64_e64 v[20:21], v[20:21], -v[80:81]
	v_add_f64_e32 v[80:81], v[16:17], v[110:111]
	v_mul_f64_e32 v[16:17], s[22:23], v[90:91]
	s_delay_alu instid0(VALU_DEP_3) | instskip(SKIP_4) | instid1(VALU_DEP_1)
	v_add_f64_e32 v[78:79], v[20:21], v[108:109]
	scratch_load_b64 v[20:21], off, off offset:1108 th:TH_LOAD_LU ; 8-byte Folded Reload
	s_wait_loadcnt 0x0
	v_add_f64_e32 v[16:17], v[20:21], v[16:17]
	v_mul_f64_e32 v[20:21], s[8:9], v[60:61]
	v_add_f64_e32 v[20:21], v[88:89], v[20:21]
	v_mul_f64_e32 v[88:89], s[18:19], v[26:27]
	s_delay_alu instid0(VALU_DEP_1) | instskip(SKIP_1) | instid1(VALU_DEP_2)
	v_add_f64_e32 v[88:89], v[92:93], v[88:89]
	v_mul_f64_e32 v[92:93], s[22:23], v[84:85]
	v_add_f64_e32 v[8:9], v[88:89], v[8:9]
	s_delay_alu instid0(VALU_DEP_2) | instskip(SKIP_2) | instid1(VALU_DEP_4)
	v_add_f64_e64 v[92:93], v[92:93], -v[94:95]
	v_mul_f64_e32 v[94:95], s[8:9], v[52:53]
	v_mul_f64_e32 v[88:89], s[2:3], v[42:43]
	v_add_f64_e32 v[8:9], v[20:21], v[8:9]
	v_mul_f64_e32 v[20:21], s[24:25], v[76:77]
	s_delay_alu instid0(VALU_DEP_4)
	v_add_f64_e64 v[94:95], v[94:95], -v[96:97]
	v_mul_f64_e32 v[96:97], s[18:19], v[24:25]
	v_add_f64_e64 v[88:89], v[88:89], -v[238:239]
	v_add_f64_e32 v[8:9], v[16:17], v[8:9]
	v_mul_f64_e32 v[16:17], s[24:25], v[74:75]
	v_add_f64_e32 v[20:21], v[38:39], v[20:21]
	v_add_f64_e64 v[96:97], v[96:97], -v[98:99]
	v_mul_f64_e32 v[98:99], s[16:17], v[248:249]
	v_mul_f64_e32 v[38:39], s[14:15], v[236:237]
	v_add_f64_e64 v[16:17], v[16:17], -v[36:37]
	v_mul_f64_e32 v[36:37], s[14:15], v[240:241]
	v_add_f64_e32 v[14:15], v[14:15], v[96:97]
	v_add_f64_e32 v[98:99], v[100:101], v[98:99]
	v_mul_f64_e32 v[100:101], s[16:17], v[246:247]
	v_add_f64_e64 v[6:7], v[38:39], -v[6:7]
	v_add_f64_e32 v[36:37], v[62:63], v[36:37]
	v_add_f64_e32 v[14:15], v[94:95], v[14:15]
	;; [unrolled: 1-line block ×3, first 2 shown]
	v_add_f64_e64 v[100:101], v[100:101], -v[102:103]
	v_mul_f64_e32 v[102:103], s[2:3], v[44:45]
	s_clause 0x2
	scratch_load_b64 v[94:95], off, off offset:1164 th:TH_LOAD_LU
	scratch_load_b64 v[38:39], off, off offset:1068 th:TH_LOAD_LU
	;; [unrolled: 1-line block ×3, first 2 shown]
	v_add_f64_e32 v[14:15], v[92:93], v[14:15]
	scratch_load_b64 v[92:93], off, off offset:1172 th:TH_LOAD_LU ; 8-byte Folded Reload
	v_add_f64_e32 v[102:103], v[242:243], v[102:103]
	v_add_f64_e32 v[14:15], v[100:101], v[14:15]
	s_delay_alu instid0(VALU_DEP_2) | instskip(NEXT) | instid1(VALU_DEP_2)
	v_add_f64_e32 v[8:9], v[102:103], v[8:9]
	v_add_f64_e32 v[14:15], v[88:89], v[14:15]
	scratch_load_b64 v[88:89], off, off offset:852 th:TH_LOAD_LU ; 8-byte Folded Reload
	v_add_f64_e32 v[8:9], v[20:21], v[8:9]
	scratch_load_b64 v[20:21], off, off offset:980 th:TH_LOAD_LU ; 8-byte Folded Reload
	v_add_f64_e32 v[14:15], v[16:17], v[14:15]
	v_add_f64_e32 v[16:17], v[36:37], v[8:9]
	s_clause 0x1
	scratch_load_b64 v[8:9], off, off offset:1076 th:TH_LOAD_LU
	scratch_load_b64 v[36:37], off, off offset:868 th:TH_LOAD_LU
	v_add_f64_e32 v[14:15], v[6:7], v[14:15]
	v_mul_f64_e32 v[6:7], s[24:25], v[90:91]
	s_wait_loadcnt 0x1
	s_delay_alu instid0(VALU_DEP_1) | instskip(SKIP_1) | instid1(VALU_DEP_1)
	v_add_f64_e32 v[6:7], v[8:9], v[6:7]
	v_mul_f64_e32 v[8:9], s[20:21], v[60:61]
	v_add_f64_e32 v[8:9], v[20:21], v[8:9]
	v_mul_f64_e32 v[20:21], s[16:17], v[26:27]
	s_wait_loadcnt 0x0
	s_delay_alu instid0(VALU_DEP_1) | instskip(SKIP_1) | instid1(VALU_DEP_2)
	v_add_f64_e32 v[20:21], v[36:37], v[20:21]
	v_mul_f64_e32 v[36:37], s[24:25], v[84:85]
	v_add_f64_e32 v[18:19], v[20:21], v[18:19]
	s_delay_alu instid0(VALU_DEP_2) | instskip(SKIP_1) | instid1(VALU_DEP_3)
	v_add_f64_e64 v[36:37], v[36:37], -v[38:39]
	v_mul_f64_e32 v[38:39], s[20:21], v[52:53]
	v_add_f64_e32 v[8:9], v[8:9], v[18:19]
	s_delay_alu instid0(VALU_DEP_2) | instskip(SKIP_1) | instid1(VALU_DEP_3)
	v_add_f64_e64 v[38:39], v[38:39], -v[62:63]
	v_mul_f64_e32 v[62:63], s[16:17], v[24:25]
	v_add_f64_e32 v[6:7], v[6:7], v[8:9]
	s_delay_alu instid0(VALU_DEP_2) | instskip(SKIP_1) | instid1(VALU_DEP_2)
	v_add_f64_e64 v[62:63], v[62:63], -v[88:89]
	v_mul_f64_e32 v[88:89], s[22:23], v[248:249]
	v_add_f64_e32 v[20:21], v[72:73], v[62:63]
	s_delay_alu instid0(VALU_DEP_2) | instskip(SKIP_2) | instid1(VALU_DEP_4)
	v_add_f64_e32 v[88:89], v[92:93], v[88:89]
	v_mul_f64_e32 v[92:93], s[22:23], v[246:247]
	v_mul_f64_e32 v[62:63], s[18:19], v[42:43]
	v_add_f64_e32 v[18:19], v[38:39], v[20:21]
	v_mul_f64_e32 v[20:21], s[14:15], v[76:77]
	s_delay_alu instid0(VALU_DEP_4)
	v_add_f64_e64 v[92:93], v[92:93], -v[94:95]
	v_mul_f64_e32 v[94:95], s[18:19], v[44:45]
	v_add_f64_e64 v[62:63], v[62:63], -v[228:229]
	v_add_f64_e32 v[6:7], v[88:89], v[6:7]
	scratch_load_b64 v[38:39], off, off offset:956 th:TH_LOAD_LU ; 8-byte Folded Reload
	v_add_f64_e32 v[8:9], v[36:37], v[18:19]
	v_mul_f64_e32 v[18:19], s[14:15], v[74:75]
	v_add_f64_e32 v[20:21], v[30:31], v[20:21]
	v_add_f64_e32 v[94:95], v[230:231], v[94:95]
	v_mul_f64_e32 v[30:31], s[8:9], v[236:237]
	v_add_f64_e32 v[8:9], v[92:93], v[8:9]
	v_add_f64_e64 v[18:19], v[18:19], -v[28:29]
	v_mul_f64_e32 v[28:29], s[8:9], v[240:241]
	v_add_f64_e32 v[6:7], v[94:95], v[6:7]
	v_add_f64_e64 v[30:31], v[30:31], -v[40:41]
	scratch_load_b64 v[40:41], off, off offset:820 th:TH_LOAD_LU ; 8-byte Folded Reload
	v_add_f64_e32 v[8:9], v[62:63], v[8:9]
	scratch_load_b64 v[62:63], off, off offset:1148 th:TH_LOAD_LU ; 8-byte Folded Reload
	v_add_f64_e32 v[28:29], v[46:47], v[28:29]
	v_add_f64_e32 v[6:7], v[20:21], v[6:7]
	s_clause 0x1
	scratch_load_b64 v[36:37], off, off offset:1052 th:TH_LOAD_LU
	scratch_load_b64 v[46:47], off, off offset:1156 th:TH_LOAD_LU
	v_add_f64_e32 v[8:9], v[18:19], v[8:9]
	v_add_f64_e32 v[20:21], v[28:29], v[6:7]
	scratch_load_b64 v[28:29], off, off offset:964 th:TH_LOAD_LU ; 8-byte Folded Reload
	v_mul_f64_e32 v[6:7], s[18:19], v[90:91]
	v_add_f64_e32 v[18:19], v[30:31], v[8:9]
	s_clause 0x1
	scratch_load_b64 v[8:9], off, off offset:1060 th:TH_LOAD_LU
	scratch_load_b64 v[30:31], off, off offset:836 th:TH_LOAD_LU
	s_wait_loadcnt 0x1
	v_add_f64_e32 v[6:7], v[8:9], v[6:7]
	v_mul_f64_e32 v[8:9], s[24:25], v[60:61]
	s_delay_alu instid0(VALU_DEP_1) | instskip(SKIP_2) | instid1(VALU_DEP_1)
	v_add_f64_e32 v[8:9], v[28:29], v[8:9]
	v_mul_f64_e32 v[28:29], s[20:21], v[26:27]
	s_wait_loadcnt 0x0
	v_add_f64_e32 v[28:29], v[30:31], v[28:29]
	v_mul_f64_e32 v[30:31], s[18:19], v[84:85]
	s_delay_alu instid0(VALU_DEP_2) | instskip(NEXT) | instid1(VALU_DEP_2)
	v_add_f64_e32 v[28:29], v[28:29], v[68:69]
	v_add_f64_e64 v[30:31], v[30:31], -v[36:37]
	v_mul_f64_e32 v[36:37], s[24:25], v[52:53]
	v_mul_f64_e32 v[68:69], s[8:9], v[42:43]
	s_delay_alu instid0(VALU_DEP_4) | instskip(NEXT) | instid1(VALU_DEP_3)
	v_add_f64_e32 v[8:9], v[8:9], v[28:29]
	v_add_f64_e64 v[36:37], v[36:37], -v[38:39]
	v_mul_f64_e32 v[38:39], s[20:21], v[24:25]
	s_delay_alu instid0(VALU_DEP_4) | instskip(NEXT) | instid1(VALU_DEP_4)
	v_add_f64_e64 v[68:69], v[68:69], -v[180:181]
	v_add_f64_e32 v[6:7], v[6:7], v[8:9]
	s_delay_alu instid0(VALU_DEP_3) | instskip(SKIP_1) | instid1(VALU_DEP_2)
	v_add_f64_e64 v[38:39], v[38:39], -v[40:41]
	v_mul_f64_e32 v[40:41], s[2:3], v[248:249]
	v_add_f64_e32 v[38:39], v[70:71], v[38:39]
	s_delay_alu instid0(VALU_DEP_2) | instskip(SKIP_1) | instid1(VALU_DEP_3)
	v_add_f64_e32 v[40:41], v[46:47], v[40:41]
	v_mul_f64_e32 v[46:47], s[2:3], v[246:247]
	v_add_f64_e32 v[28:29], v[36:37], v[38:39]
	v_mul_f64_e32 v[36:37], s[16:17], v[76:77]
	s_delay_alu instid0(VALU_DEP_3)
	v_add_f64_e64 v[46:47], v[46:47], -v[62:63]
	v_mul_f64_e32 v[62:63], s[8:9], v[44:45]
	v_add_f64_e32 v[6:7], v[40:41], v[6:7]
	s_clause 0x1
	scratch_load_b64 v[38:39], off, off offset:940 th:TH_LOAD_LU
	scratch_load_b64 v[40:41], off, off offset:788 th:TH_LOAD_LU
	v_add_f64_e32 v[8:9], v[30:31], v[28:29]
	v_mul_f64_e32 v[28:29], s[16:17], v[74:75]
	v_add_f64_e32 v[2:3], v[2:3], v[36:37]
	v_add_f64_e32 v[62:63], v[182:183], v[62:63]
	v_mul_f64_e32 v[30:31], s[22:23], v[236:237]
	v_add_f64_e32 v[8:9], v[46:47], v[8:9]
	v_add_f64_e64 v[0:1], v[28:29], -v[0:1]
	v_mul_f64_e32 v[28:29], s[22:23], v[240:241]
	v_add_f64_e32 v[6:7], v[62:63], v[6:7]
	v_add_f64_e64 v[30:31], v[30:31], -v[48:49]
	s_clause 0x3
	scratch_load_b64 v[46:47], off, off offset:1140 th:TH_LOAD_LU
	scratch_load_b64 v[48:49], off, off offset:1132 th:TH_LOAD_LU
	;; [unrolled: 1-line block ×4, first 2 shown]
	v_add_f64_e32 v[8:9], v[68:69], v[8:9]
	v_add_f64_e32 v[28:29], v[50:51], v[28:29]
	v_add_f64_e32 v[2:3], v[2:3], v[6:7]
	v_mul_f64_e32 v[6:7], s[8:9], v[90:91]
	v_mul_f64_e32 v[50:51], s[22:23], v[42:43]
	v_add_f64_e32 v[0:1], v[0:1], v[8:9]
	scratch_load_b64 v[8:9], off, off offset:1044 th:TH_LOAD_LU ; 8-byte Folded Reload
	v_add_f64_e32 v[2:3], v[28:29], v[2:3]
	scratch_load_b64 v[28:29], off, off offset:948 th:TH_LOAD_LU ; 8-byte Folded Reload
	v_add_f64_e64 v[50:51], v[50:51], -v[212:213]
	v_add_f64_e32 v[0:1], v[30:31], v[0:1]
	scratch_load_b64 v[30:31], off, off offset:804 th:TH_LOAD_LU ; 8-byte Folded Reload
	s_wait_loadcnt 0x2
	v_add_f64_e32 v[6:7], v[8:9], v[6:7]
	v_mul_f64_e32 v[8:9], s[18:19], v[60:61]
	s_wait_loadcnt 0x1
	s_delay_alu instid0(VALU_DEP_1) | instskip(SKIP_2) | instid1(VALU_DEP_1)
	v_add_f64_e32 v[8:9], v[28:29], v[8:9]
	v_mul_f64_e32 v[28:29], s[24:25], v[26:27]
	s_wait_loadcnt 0x0
	v_add_f64_e32 v[28:29], v[30:31], v[28:29]
	v_mul_f64_e32 v[30:31], s[8:9], v[84:85]
	s_delay_alu instid0(VALU_DEP_2) | instskip(NEXT) | instid1(VALU_DEP_2)
	v_add_f64_e32 v[28:29], v[28:29], v[64:65]
	v_add_f64_e64 v[30:31], v[30:31], -v[36:37]
	v_mul_f64_e32 v[36:37], s[18:19], v[52:53]
	s_delay_alu instid0(VALU_DEP_3) | instskip(NEXT) | instid1(VALU_DEP_2)
	v_add_f64_e32 v[8:9], v[8:9], v[28:29]
	v_add_f64_e64 v[36:37], v[36:37], -v[38:39]
	v_mul_f64_e32 v[38:39], s[24:25], v[24:25]
	s_delay_alu instid0(VALU_DEP_3) | instskip(NEXT) | instid1(VALU_DEP_2)
	v_add_f64_e32 v[6:7], v[6:7], v[8:9]
	v_add_f64_e64 v[38:39], v[38:39], -v[40:41]
	v_mul_f64_e32 v[40:41], s[14:15], v[248:249]
	s_delay_alu instid0(VALU_DEP_2) | instskip(NEXT) | instid1(VALU_DEP_2)
	v_add_f64_e32 v[38:39], v[66:67], v[38:39]
	v_add_f64_e32 v[40:41], v[46:47], v[40:41]
	v_mul_f64_e32 v[46:47], s[14:15], v[246:247]
	s_delay_alu instid0(VALU_DEP_3) | instskip(SKIP_1) | instid1(VALU_DEP_3)
	v_add_f64_e32 v[28:29], v[36:37], v[38:39]
	v_mul_f64_e32 v[38:39], s[2:3], v[236:237]
	v_add_f64_e64 v[46:47], v[46:47], -v[48:49]
	v_mul_f64_e32 v[48:49], s[22:23], v[44:45]
	v_mul_f64_e32 v[36:37], s[20:21], v[76:77]
	v_add_f64_e32 v[6:7], v[40:41], v[6:7]
	v_add_f64_e32 v[8:9], v[30:31], v[28:29]
	v_mul_f64_e32 v[28:29], s[20:21], v[74:75]
	v_add_f64_e64 v[38:39], v[38:39], -v[54:55]
	v_add_f64_e32 v[48:49], v[86:87], v[48:49]
	v_add_f64_e32 v[36:37], v[254:255], v[36:37]
	v_mul_f64_e32 v[30:31], s[2:3], v[240:241]
	s_clause 0x1
	scratch_load_b64 v[54:55], off, off offset:1116 th:TH_LOAD_LU
	scratch_load_b64 v[40:41], off, off offset:1020 th:TH_LOAD_LU
	v_add_f64_e32 v[8:9], v[46:47], v[8:9]
	v_add_f64_e64 v[28:29], v[28:29], -v[252:253]
	scratch_load_b64 v[46:47], off, off offset:916 th:TH_LOAD_LU ; 8-byte Folded Reload
	v_add_f64_e32 v[6:7], v[48:49], v[6:7]
	scratch_load_b64 v[48:49], off, off offset:756 th:TH_LOAD_LU ; 8-byte Folded Reload
	v_add_f64_e32 v[30:31], v[56:57], v[30:31]
	;; [unrolled: 2-line block ×5, first 2 shown]
	v_add_f64_e32 v[30:31], v[30:31], v[6:7]
	v_mul_f64_e32 v[6:7], s[14:15], v[90:91]
	s_delay_alu instid0(VALU_DEP_3)
	v_add_f64_e32 v[28:29], v[38:39], v[8:9]
	s_clause 0x1
	scratch_load_b64 v[8:9], off, off offset:1028 th:TH_LOAD_LU
	scratch_load_b64 v[38:39], off, off offset:772 th:TH_LOAD_LU
	s_wait_loadcnt 0x1
	v_add_f64_e32 v[6:7], v[8:9], v[6:7]
	v_mul_f64_e32 v[8:9], s[2:3], v[60:61]
	s_delay_alu instid0(VALU_DEP_1) | instskip(SKIP_3) | instid1(VALU_DEP_2)
	v_add_f64_e32 v[8:9], v[36:37], v[8:9]
	v_mul_f64_e32 v[36:37], s[22:23], v[26:27]
	v_mul_f64_e32 v[26:27], s[2:3], v[26:27]
	s_wait_loadcnt 0x0
	v_add_f64_e32 v[36:37], v[38:39], v[36:37]
	v_mul_f64_e32 v[38:39], s[14:15], v[84:85]
	s_delay_alu instid0(VALU_DEP_2) | instskip(NEXT) | instid1(VALU_DEP_2)
	v_add_f64_e32 v[36:37], v[36:37], v[80:81]
	v_add_f64_e64 v[38:39], v[38:39], -v[40:41]
	v_mul_f64_e32 v[40:41], s[2:3], v[52:53]
	s_delay_alu instid0(VALU_DEP_3) | instskip(NEXT) | instid1(VALU_DEP_2)
	v_add_f64_e32 v[8:9], v[8:9], v[36:37]
	v_add_f64_e64 v[40:41], v[40:41], -v[46:47]
	v_mul_f64_e32 v[46:47], s[22:23], v[24:25]
	v_mul_f64_e32 v[24:25], s[2:3], v[24:25]
	s_delay_alu instid0(VALU_DEP_4) | instskip(NEXT) | instid1(VALU_DEP_3)
	v_add_f64_e32 v[6:7], v[6:7], v[8:9]
	v_add_f64_e64 v[46:47], v[46:47], -v[48:49]
	v_mul_f64_e32 v[48:49], s[24:25], v[248:249]
	s_delay_alu instid0(VALU_DEP_2) | instskip(NEXT) | instid1(VALU_DEP_2)
	v_add_f64_e32 v[46:47], v[82:83], v[46:47]
	v_add_f64_e32 v[48:49], v[50:51], v[48:49]
	v_mul_f64_e32 v[50:51], s[24:25], v[246:247]
	s_delay_alu instid0(VALU_DEP_3) | instskip(SKIP_1) | instid1(VALU_DEP_3)
	v_add_f64_e32 v[36:37], v[40:41], v[46:47]
	v_mul_f64_e32 v[40:41], s[8:9], v[76:77]
	v_add_f64_e64 v[50:51], v[50:51], -v[54:55]
	v_mul_f64_e32 v[54:55], s[16:17], v[44:45]
	v_add_f64_e32 v[6:7], v[48:49], v[6:7]
	v_mul_f64_e32 v[44:45], s[20:21], v[44:45]
	s_clause 0x1
	scratch_load_b64 v[46:47], off, off offset:988 th:TH_LOAD_LU
	scratch_load_b64 v[48:49], off, off offset:1092 th:TH_LOAD_LU
	v_add_f64_e32 v[8:9], v[38:39], v[36:37]
	v_mul_f64_e32 v[36:37], s[8:9], v[74:75]
	v_mul_f64_e32 v[38:39], s[20:21], v[240:241]
	v_add_f64_e32 v[54:55], v[56:57], v[54:55]
	v_mul_f64_e32 v[56:57], s[16:17], v[42:43]
	v_add_f64_e32 v[40:41], v[250:251], v[40:41]
	v_add_f64_e32 v[8:9], v[50:51], v[8:9]
	v_add_f64_e64 v[36:37], v[36:37], -v[244:245]
	v_add_f64_e32 v[4:5], v[4:5], v[38:39]
	v_add_f64_e32 v[6:7], v[54:55], v[6:7]
	v_add_f64_e64 v[56:57], v[56:57], -v[62:63]
	v_mul_f64_e32 v[38:39], s[20:21], v[236:237]
	scratch_load_b64 v[50:51], off, off offset:1084 th:TH_LOAD_LU ; 8-byte Folded Reload
	v_add_f64_e32 v[6:7], v[40:41], v[6:7]
	v_add_f64_e32 v[8:9], v[56:57], v[8:9]
	v_add_f64_e64 v[38:39], v[38:39], -v[58:59]
	scratch_load_b64 v[40:41], off, off offset:876 th:TH_LOAD_LU ; 8-byte Folded Reload
	v_add_f64_e32 v[6:7], v[4:5], v[6:7]
	v_add_f64_e32 v[8:9], v[36:37], v[8:9]
	scratch_load_b64 v[36:37], off, off offset:996 th:TH_LOAD_LU ; 8-byte Folded Reload
	v_add_f64_e32 v[4:5], v[38:39], v[8:9]
	scratch_load_b64 v[38:39], off, off offset:884 th:TH_LOAD_LU ; 8-byte Folded Reload
	v_mul_f64_e32 v[8:9], s[16:17], v[90:91]
	s_wait_loadcnt 0x1
	s_delay_alu instid0(VALU_DEP_1) | instskip(SKIP_2) | instid1(VALU_DEP_1)
	v_add_f64_e32 v[8:9], v[36:37], v[8:9]
	v_mul_f64_e32 v[36:37], s[14:15], v[60:61]
	s_wait_loadcnt 0x0
	v_add_f64_e32 v[36:37], v[38:39], v[36:37]
	scratch_load_b64 v[38:39], off, off offset:548 th:TH_LOAD_LU ; 8-byte Folded Reload
	s_wait_loadcnt 0x0
	v_add_f64_e32 v[26:27], v[38:39], v[26:27]
	scratch_load_b64 v[38:39], off, off offset:532 th:TH_LOAD_LU ; 8-byte Folded Reload
	v_add_f64_e32 v[22:23], v[26:27], v[22:23]
	v_mul_f64_e32 v[26:27], s[20:21], v[42:43]
	scratch_load_b64 v[42:43], off, off offset:1180 th:TH_LOAD_LU ; 8-byte Folded Reload
	v_add_f64_e32 v[22:23], v[36:37], v[22:23]
	v_mul_f64_e32 v[36:37], s[22:23], v[76:77]
	s_delay_alu instid0(VALU_DEP_2) | instskip(NEXT) | instid1(VALU_DEP_2)
	v_add_f64_e32 v[8:9], v[8:9], v[22:23]
	v_add_f64_e32 v[36:37], v[234:235], v[36:37]
	s_wait_loadcnt 0x1
	v_add_f64_e64 v[24:25], v[24:25], -v[38:39]
	v_mul_f64_e32 v[38:39], s[14:15], v[52:53]
	s_delay_alu instid0(VALU_DEP_2) | instskip(NEXT) | instid1(VALU_DEP_2)
	v_add_f64_e32 v[24:25], v[78:79], v[24:25]
	v_add_f64_e64 v[38:39], v[38:39], -v[40:41]
	v_mul_f64_e32 v[40:41], s[16:17], v[84:85]
	s_wait_loadcnt 0x0
	v_add_f64_e64 v[26:27], v[26:27], -v[42:43]
	s_delay_alu instid0(VALU_DEP_3) | instskip(NEXT) | instid1(VALU_DEP_3)
	v_add_f64_e32 v[24:25], v[38:39], v[24:25]
	v_add_f64_e64 v[40:41], v[40:41], -v[46:47]
	v_mul_f64_e32 v[46:47], s[18:19], v[248:249]
	v_mul_f64_e32 v[38:39], s[24:25], v[240:241]
	s_delay_alu instid0(VALU_DEP_3) | instskip(NEXT) | instid1(VALU_DEP_3)
	v_add_f64_e32 v[22:23], v[40:41], v[24:25]
	v_add_f64_e32 v[46:47], v[48:49], v[46:47]
	v_mul_f64_e32 v[48:49], s[18:19], v[246:247]
	v_mul_f64_e32 v[24:25], s[22:23], v[74:75]
	v_add_f64_e32 v[34:35], v[34:35], v[38:39]
	s_delay_alu instid0(VALU_DEP_4) | instskip(NEXT) | instid1(VALU_DEP_4)
	v_add_f64_e32 v[8:9], v[46:47], v[8:9]
	v_add_f64_e64 v[48:49], v[48:49], -v[50:51]
	scratch_load_b64 v[50:51], off, off offset:1188 th:TH_LOAD_LU ; 8-byte Folded Reload
	v_add_f64_e64 v[24:25], v[24:25], -v[232:233]
	v_add_f64_e32 v[22:23], v[48:49], v[22:23]
	s_delay_alu instid0(VALU_DEP_1) | instskip(SKIP_1) | instid1(VALU_DEP_2)
	v_add_f64_e32 v[22:23], v[26:27], v[22:23]
	v_mul_f64_e32 v[26:27], s[24:25], v[236:237]
	v_add_f64_e32 v[22:23], v[24:25], v[22:23]
	s_delay_alu instid0(VALU_DEP_2) | instskip(NEXT) | instid1(VALU_DEP_1)
	v_add_f64_e64 v[26:27], v[26:27], -v[32:33]
	v_add_f64_e32 v[22:23], v[26:27], v[22:23]
	s_wait_loadcnt 0x0
	v_add_f64_e32 v[44:45], v[50:51], v[44:45]
	s_delay_alu instid0(VALU_DEP_1) | instskip(NEXT) | instid1(VALU_DEP_1)
	v_add_f64_e32 v[8:9], v[44:45], v[8:9]
	v_add_f64_e32 v[8:9], v[36:37], v[8:9]
	s_delay_alu instid0(VALU_DEP_1)
	v_add_f64_e32 v[24:25], v[34:35], v[8:9]
	v_lshl_add_u32 v8, v218, 4, v166
	ds_store_b128 v8, v[18:21] offset:32
	ds_store_b128 v8, v[0:3] offset:48
	;; [unrolled: 1-line block ×3, first 2 shown]
	scratch_load_b128 v[0:3], off, off offset:92 ; 16-byte Folded Reload
	s_wait_loadcnt 0x0
	ds_store_b128 v8, v[0:3] offset:128
	scratch_load_b128 v[0:3], off, off offset:108 ; 16-byte Folded Reload
	s_wait_loadcnt 0x0
	ds_store_b128 v8, v[0:3] offset:144
	;; [unrolled: 3-line block ×6, first 2 shown]
	ds_store_b128 v8, v[223:226] offset:224
	ds_store_b128 v8, v[219:222] offset:240
	scratch_load_b128 v[0:3], off, off offset:60 ; 16-byte Folded Reload
	s_wait_loadcnt 0x0
	ds_store_b128 v8, v[0:3] offset:112
	ds_store_b128 v8, v[4:7] offset:80
	;; [unrolled: 1-line block ×4, first 2 shown]
	ds_store_b128 v8, v[10:13]
	ds_store_b128 v8, v[214:217] offset:256
.LBB0_7:
	s_wait_alu 0xfffe
	s_or_b32 exec_lo, exec_lo, s26
	scratch_load_b32 v108, off, off offset:8 ; 4-byte Folded Reload
	global_wb scope:SCOPE_SE
	s_wait_storecnt 0x0
	s_wait_loadcnt_dscnt 0x0
	s_barrier_signal -1
	s_barrier_wait -1
	global_inv scope:SCOPE_SE
	s_mov_b32 s2, 0xe8584caa
	s_mov_b32 s3, 0x3febb67a
	;; [unrolled: 1-line block ×3, first 2 shown]
	s_wait_alu 0xfffe
	s_mov_b32 s8, s2
	v_lshl_add_u32 v167, v227, 4, v167
	v_lshlrev_b32_e32 v0, 5, v108
	s_clause 0x1
	global_load_b128 v[228:231], v0, s[0:1]
	global_load_b128 v[109:112], v0, s[0:1] offset:16
	v_add_nc_u16 v0, v108, 34
	s_delay_alu instid0(VALU_DEP_1) | instskip(NEXT) | instid1(VALU_DEP_1)
	v_and_b32_e32 v1, 0xff, v0
	v_mul_lo_u16 v1, 0xf1, v1
	s_delay_alu instid0(VALU_DEP_1) | instskip(NEXT) | instid1(VALU_DEP_1)
	v_lshrrev_b16 v1, 12, v1
	v_mul_lo_u16 v1, v1, 17
	s_delay_alu instid0(VALU_DEP_1) | instskip(NEXT) | instid1(VALU_DEP_1)
	v_sub_nc_u16 v66, v0, v1
	v_lshlrev_b16 v0, 1, v66
	s_delay_alu instid0(VALU_DEP_1) | instskip(NEXT) | instid1(VALU_DEP_1)
	v_and_b32_e32 v0, 0xfe, v0
	v_lshlrev_b32_e32 v0, 4, v0
	s_clause 0x1
	global_load_b128 v[236:239], v0, s[0:1]
	global_load_b128 v[232:235], v0, s[0:1] offset:16
	v_add_nc_u16 v0, v108, 51
	s_delay_alu instid0(VALU_DEP_1) | instskip(NEXT) | instid1(VALU_DEP_1)
	v_and_b32_e32 v1, 0xff, v0
	v_mul_lo_u16 v1, 0xf1, v1
	s_delay_alu instid0(VALU_DEP_1) | instskip(NEXT) | instid1(VALU_DEP_1)
	v_lshrrev_b16 v1, 12, v1
	v_mul_lo_u16 v1, v1, 17
	s_delay_alu instid0(VALU_DEP_1) | instskip(NEXT) | instid1(VALU_DEP_1)
	v_sub_nc_u16 v67, v0, v1
	v_lshlrev_b16 v0, 1, v67
	s_delay_alu instid0(VALU_DEP_1) | instskip(NEXT) | instid1(VALU_DEP_1)
	v_and_b32_e32 v0, 0xfe, v0
	v_lshlrev_b32_e32 v32, 4, v0
	global_load_b128 v[240:243], v32, s[0:1]
	ds_load_b128 v[0:3], v164 offset:2176
	ds_load_b128 v[4:7], v164 offset:4352
	global_load_b128 v[32:35], v32, s[0:1] offset:16
	ds_load_b128 v[8:11], v164 offset:2448
	ds_load_b128 v[12:15], v164 offset:4624
	;; [unrolled: 1-line block ×3, first 2 shown]
	s_wait_loadcnt_dscnt 0x504
	v_mul_f64_e32 v[16:17], v[2:3], v[230:231]
	v_mul_f64_e32 v[18:19], v[0:1], v[230:231]
	s_wait_loadcnt_dscnt 0x403
	v_mul_f64_e32 v[22:23], v[4:5], v[111:112]
	v_mul_f64_e32 v[20:21], v[6:7], v[111:112]
	s_wait_dscnt 0x1
	v_mul_f64_e32 v[28:29], v[14:15], v[111:112]
	v_fma_f64 v[56:57], v[0:1], v[228:229], -v[16:17]
	v_fma_f64 v[60:61], v[2:3], v[228:229], v[18:19]
	ds_load_b128 v[0:3], v164 offset:2720
	v_mul_f64_e32 v[26:27], v[8:9], v[230:231]
	v_mul_f64_e32 v[24:25], v[10:11], v[230:231]
	;; [unrolled: 1-line block ×3, first 2 shown]
	v_fma_f64 v[62:63], v[6:7], v[109:110], v[22:23]
	v_fma_f64 v[58:59], v[4:5], v[109:110], -v[20:21]
	s_wait_loadcnt_dscnt 0x300
	v_mul_f64_e32 v[20:21], v[0:1], v[238:239]
	v_fma_f64 v[6:7], v[10:11], v[228:229], v[26:27]
	v_mul_f64_e32 v[10:11], v[2:3], v[238:239]
	v_fma_f64 v[4:5], v[8:9], v[228:229], -v[24:25]
	v_fma_f64 v[8:9], v[12:13], v[109:110], -v[28:29]
	v_fma_f64 v[12:13], v[14:15], v[109:110], v[16:17]
	ds_load_b128 v[14:17], v164 offset:4896
	v_add_f64_e32 v[73:74], v[60:61], v[62:63]
	v_add_f64_e32 v[64:65], v[56:57], v[58:59]
	s_wait_loadcnt 0x0
	scratch_store_b128 off, v[32:35], off offset:420 ; 16-byte Folded Spill
	v_fma_f64 v[26:27], v[2:3], v[236:237], v[20:21]
	s_wait_dscnt 0x0
	v_mul_f64_e32 v[22:23], v[16:17], v[234:235]
	v_fma_f64 v[18:19], v[0:1], v[236:237], -v[10:11]
	v_mul_f64_e32 v[0:1], v[14:15], v[234:235]
	v_add_f64_e32 v[77:78], v[6:7], v[12:13]
	s_delay_alu instid0(VALU_DEP_4) | instskip(NEXT) | instid1(VALU_DEP_3)
	v_fma_f64 v[22:23], v[14:15], v[232:233], -v[22:23]
	v_fma_f64 v[30:31], v[16:17], v[232:233], v[0:1]
	ds_load_b128 v[0:3], v164 offset:2992
	s_wait_dscnt 0x0
	v_mul_f64_e32 v[10:11], v[2:3], v[242:243]
	s_delay_alu instid0(VALU_DEP_1) | instskip(SKIP_1) | instid1(VALU_DEP_1)
	v_fma_f64 v[10:11], v[0:1], v[240:241], -v[10:11]
	v_mul_f64_e32 v[0:1], v[0:1], v[242:243]
	v_fma_f64 v[14:15], v[2:3], v[240:241], v[0:1]
	ds_load_b128 v[0:3], v164 offset:5168
	s_wait_dscnt 0x0
	v_mul_f64_e32 v[16:17], v[2:3], v[34:35]
	s_delay_alu instid0(VALU_DEP_1) | instskip(SKIP_1) | instid1(VALU_DEP_1)
	v_fma_f64 v[16:17], v[0:1], v[32:33], -v[16:17]
	v_mul_f64_e32 v[0:1], v[0:1], v[34:35]
	v_fma_f64 v[24:25], v[2:3], v[32:33], v[0:1]
	v_add_nc_u16 v0, v108, 0x44
	s_delay_alu instid0(VALU_DEP_1) | instskip(NEXT) | instid1(VALU_DEP_1)
	v_and_b32_e32 v1, 0xff, v0
	v_mul_lo_u16 v1, 0xf1, v1
	s_delay_alu instid0(VALU_DEP_1) | instskip(NEXT) | instid1(VALU_DEP_1)
	v_lshrrev_b16 v1, 12, v1
	v_mul_lo_u16 v1, v1, 17
	s_delay_alu instid0(VALU_DEP_1) | instskip(NEXT) | instid1(VALU_DEP_1)
	v_sub_nc_u16 v68, v0, v1
	v_lshlrev_b16 v0, 1, v68
	s_delay_alu instid0(VALU_DEP_1) | instskip(NEXT) | instid1(VALU_DEP_1)
	v_and_b32_e32 v0, 0xfe, v0
	v_lshlrev_b32_e32 v32, 4, v0
	ds_load_b128 v[0:3], v164 offset:3264
	global_load_b128 v[33:36], v32, s[0:1]
	s_wait_loadcnt_dscnt 0x0
	v_mul_f64_e32 v[20:21], v[2:3], v[35:36]
	scratch_store_b128 off, v[33:36], off offset:484 ; 16-byte Folded Spill
	v_fma_f64 v[20:21], v[0:1], v[33:34], -v[20:21]
	v_mul_f64_e32 v[0:1], v[0:1], v[35:36]
	s_delay_alu instid0(VALU_DEP_1)
	v_fma_f64 v[28:29], v[2:3], v[33:34], v[0:1]
	global_load_b128 v[34:37], v32, s[0:1] offset:16
	ds_load_b128 v[0:3], v164 offset:5440
	s_wait_loadcnt_dscnt 0x0
	v_mul_f64_e32 v[32:33], v[2:3], v[36:37]
	scratch_store_b128 off, v[34:37], off offset:436 ; 16-byte Folded Spill
	v_fma_f64 v[32:33], v[0:1], v[34:35], -v[32:33]
	v_mul_f64_e32 v[0:1], v[0:1], v[36:37]
	s_delay_alu instid0(VALU_DEP_1) | instskip(SKIP_1) | instid1(VALU_DEP_1)
	v_fma_f64 v[36:37], v[2:3], v[34:35], v[0:1]
	v_add_nc_u16 v0, v108, 0x55
	v_and_b32_e32 v1, 0xff, v0
	s_delay_alu instid0(VALU_DEP_1) | instskip(NEXT) | instid1(VALU_DEP_1)
	v_mul_lo_u16 v1, 0xf1, v1
	v_lshrrev_b16 v1, 12, v1
	s_delay_alu instid0(VALU_DEP_1) | instskip(NEXT) | instid1(VALU_DEP_1)
	v_mul_lo_u16 v1, v1, 17
	v_sub_nc_u16 v69, v0, v1
	s_delay_alu instid0(VALU_DEP_1) | instskip(NEXT) | instid1(VALU_DEP_1)
	v_lshlrev_b16 v0, 1, v69
	v_and_b32_e32 v0, 0xfe, v0
	s_delay_alu instid0(VALU_DEP_1)
	v_lshlrev_b32_e32 v40, 4, v0
	ds_load_b128 v[0:3], v164 offset:3536
	global_load_b128 v[41:44], v40, s[0:1]
	s_wait_loadcnt_dscnt 0x0
	v_mul_f64_e32 v[34:35], v[2:3], v[43:44]
	scratch_store_b128 off, v[41:44], off offset:500 ; 16-byte Folded Spill
	v_fma_f64 v[34:35], v[0:1], v[41:42], -v[34:35]
	v_mul_f64_e32 v[0:1], v[0:1], v[43:44]
	s_delay_alu instid0(VALU_DEP_1)
	v_fma_f64 v[38:39], v[2:3], v[41:42], v[0:1]
	global_load_b128 v[42:45], v40, s[0:1] offset:16
	ds_load_b128 v[0:3], v164 offset:5712
	s_wait_loadcnt_dscnt 0x0
	v_mul_f64_e32 v[40:41], v[2:3], v[44:45]
	scratch_store_b128 off, v[42:45], off offset:452 ; 16-byte Folded Spill
	v_fma_f64 v[40:41], v[0:1], v[42:43], -v[40:41]
	v_mul_f64_e32 v[0:1], v[0:1], v[44:45]
	s_delay_alu instid0(VALU_DEP_1) | instskip(SKIP_1) | instid1(VALU_DEP_1)
	v_fma_f64 v[44:45], v[2:3], v[42:43], v[0:1]
	v_add_nc_u16 v0, v108, 0x66
	v_and_b32_e32 v1, 0xff, v0
	s_delay_alu instid0(VALU_DEP_1) | instskip(NEXT) | instid1(VALU_DEP_1)
	v_mul_lo_u16 v1, 0xf1, v1
	v_lshrrev_b16 v1, 12, v1
	s_delay_alu instid0(VALU_DEP_1) | instskip(NEXT) | instid1(VALU_DEP_1)
	v_mul_lo_u16 v1, v1, 17
	v_sub_nc_u16 v70, v0, v1
	s_delay_alu instid0(VALU_DEP_1) | instskip(NEXT) | instid1(VALU_DEP_1)
	v_lshlrev_b16 v0, 1, v70
	v_and_b32_e32 v0, 0xfe, v0
	s_delay_alu instid0(VALU_DEP_1)
	;; [unrolled: 31-line block ×3, first 2 shown]
	v_lshlrev_b32_e32 v72, 4, v0
	ds_load_b128 v[0:3], v164 offset:4080
	s_clause 0x1
	global_load_b128 v[244:247], v72, s[0:1]
	global_load_b128 v[85:88], v72, s[0:1] offset:16
	s_wait_loadcnt_dscnt 0x100
	v_mul_f64_e32 v[50:51], v[2:3], v[246:247]
	s_wait_loadcnt 0x0
	scratch_store_b128 off, v[85:88], off offset:892 ; 16-byte Folded Spill
	v_fma_f64 v[50:51], v[0:1], v[244:245], -v[50:51]
	v_mul_f64_e32 v[0:1], v[0:1], v[246:247]
	s_delay_alu instid0(VALU_DEP_1)
	v_fma_f64 v[54:55], v[2:3], v[244:245], v[0:1]
	ds_load_b128 v[0:3], v164
	s_wait_dscnt 0x0
	v_fma_f64 v[73:74], v[73:74], -0.5, v[2:3]
	v_add_f64_e32 v[2:3], v[2:3], v[60:61]
	v_fma_f64 v[64:65], v[64:65], -0.5, v[0:1]
	v_add_f64_e64 v[60:61], v[60:61], -v[62:63]
	v_add_f64_e32 v[0:1], v[0:1], v[56:57]
	s_delay_alu instid0(VALU_DEP_4) | instskip(SKIP_1) | instid1(VALU_DEP_4)
	v_add_f64_e32 v[2:3], v[2:3], v[62:63]
	v_add_f64_e64 v[62:63], v[56:57], -v[58:59]
	v_fma_f64 v[56:57], v[60:61], s[2:3], v[64:65]
	s_wait_alu 0xfffe
	v_fma_f64 v[60:61], v[60:61], s[8:9], v[64:65]
	v_add_f64_e32 v[64:65], v[4:5], v[8:9]
	v_add_f64_e32 v[0:1], v[0:1], v[58:59]
	v_fma_f64 v[58:59], v[62:63], s[8:9], v[73:74]
	v_fma_f64 v[62:63], v[62:63], s[2:3], v[73:74]
	ds_load_b128 v[73:76], v164 offset:272
	s_wait_dscnt 0x0
	v_fma_f64 v[64:65], v[64:65], -0.5, v[73:74]
	v_add_f64_e32 v[73:74], v[73:74], v[4:5]
	v_fma_f64 v[79:80], v[77:78], -0.5, v[75:76]
	v_add_f64_e32 v[75:76], v[75:76], v[6:7]
	v_add_f64_e64 v[6:7], v[6:7], -v[12:13]
	s_delay_alu instid0(VALU_DEP_4) | instskip(SKIP_1) | instid1(VALU_DEP_4)
	v_add_f64_e32 v[73:74], v[73:74], v[8:9]
	v_add_f64_e64 v[8:9], v[4:5], -v[8:9]
	v_add_f64_e32 v[75:76], v[75:76], v[12:13]
	s_delay_alu instid0(VALU_DEP_4)
	v_fma_f64 v[4:5], v[6:7], s[2:3], v[64:65]
	v_fma_f64 v[77:78], v[6:7], s[8:9], v[64:65]
	v_add_f64_e64 v[12:13], v[26:27], -v[30:31]
	v_fma_f64 v[6:7], v[8:9], s[8:9], v[79:80]
	v_fma_f64 v[79:80], v[8:9], s[2:3], v[79:80]
	v_mul_f64_e32 v[8:9], v[83:84], v[87:88]
	s_delay_alu instid0(VALU_DEP_1) | instskip(SKIP_1) | instid1(VALU_DEP_1)
	v_fma_f64 v[64:65], v[81:82], v[85:86], -v[8:9]
	v_mul_f64_e32 v[8:9], v[81:82], v[87:88]
	v_fma_f64 v[105:106], v[83:84], v[85:86], v[8:9]
	ds_load_b128 v[81:84], v164 offset:544
	ds_load_b128 v[85:88], v164 offset:816
	;; [unrolled: 1-line block ×6, first 2 shown]
	global_wb scope:SCOPE_SE
	s_wait_storecnt_dscnt 0x0
	s_barrier_signal -1
	s_barrier_wait -1
	global_inv scope:SCOPE_SE
	ds_store_b128 v164, v[0:3]
	ds_store_b128 v164, v[73:76] offset:816
	ds_store_b128 v164, v[56:59] offset:272
	;; [unrolled: 1-line block ×5, first 2 shown]
	v_add_f64_e32 v[0:1], v[18:19], v[22:23]
	v_add_f64_e64 v[62:63], v[38:39], -v[44:45]
	v_add_f64_e64 v[76:77], v[46:47], -v[52:53]
	v_add_f64_e32 v[4:5], v[81:82], v[18:19]
	v_add_f64_e64 v[18:19], v[18:19], -v[22:23]
	v_fma_f64 v[6:7], v[0:1], -0.5, v[81:82]
	v_add_f64_e32 v[0:1], v[26:27], v[30:31]
	v_add_f64_e64 v[80:81], v[54:55], -v[105:106]
	s_delay_alu instid0(VALU_DEP_3) | instskip(NEXT) | instid1(VALU_DEP_3)
	v_fma_f64 v[56:57], v[12:13], s[8:9], v[6:7]
	v_fma_f64 v[8:9], v[0:1], -0.5, v[83:84]
	v_add_f64_e32 v[0:1], v[83:84], v[26:27]
	v_add_f64_e64 v[26:27], v[14:15], -v[24:25]
	s_delay_alu instid0(VALU_DEP_3) | instskip(NEXT) | instid1(VALU_DEP_3)
	v_fma_f64 v[58:59], v[18:19], s[2:3], v[8:9]
	v_add_f64_e32 v[2:3], v[0:1], v[30:31]
	v_add_f64_e32 v[0:1], v[4:5], v[22:23]
	v_fma_f64 v[4:5], v[12:13], s[2:3], v[6:7]
	v_fma_f64 v[6:7], v[18:19], s[8:9], v[8:9]
	v_add_f64_e32 v[8:9], v[10:11], v[16:17]
	v_add_f64_e32 v[12:13], v[85:86], v[10:11]
	s_delay_alu instid0(VALU_DEP_2) | instskip(SKIP_1) | instid1(VALU_DEP_3)
	v_fma_f64 v[18:19], v[8:9], -0.5, v[85:86]
	v_add_f64_e32 v[8:9], v[14:15], v[24:25]
	v_add_f64_e32 v[12:13], v[12:13], v[16:17]
	s_delay_alu instid0(VALU_DEP_2) | instskip(SKIP_1) | instid1(VALU_DEP_1)
	v_fma_f64 v[22:23], v[8:9], -0.5, v[87:88]
	v_add_f64_e32 v[8:9], v[87:88], v[14:15]
	v_add_f64_e32 v[14:15], v[8:9], v[24:25]
	v_add_f64_e64 v[24:25], v[10:11], -v[16:17]
	v_fma_f64 v[8:9], v[26:27], s[2:3], v[18:19]
	v_fma_f64 v[16:17], v[26:27], s[8:9], v[18:19]
	v_add_f64_e32 v[26:27], v[89:90], v[20:21]
	s_delay_alu instid0(VALU_DEP_4) | instskip(SKIP_3) | instid1(VALU_DEP_2)
	v_fma_f64 v[10:11], v[24:25], s[8:9], v[22:23]
	v_fma_f64 v[18:19], v[24:25], s[2:3], v[22:23]
	v_add_f64_e32 v[22:23], v[20:21], v[32:33]
	v_add_f64_e64 v[20:21], v[20:21], -v[32:33]
	v_fma_f64 v[30:31], v[22:23], -0.5, v[89:90]
	v_add_f64_e32 v[22:23], v[28:29], v[36:37]
	s_delay_alu instid0(VALU_DEP_1) | instskip(SKIP_2) | instid1(VALU_DEP_2)
	v_fma_f64 v[60:61], v[22:23], -0.5, v[91:92]
	v_add_f64_e32 v[22:23], v[91:92], v[28:29]
	v_add_f64_e64 v[28:29], v[28:29], -v[36:37]
	v_add_f64_e32 v[24:25], v[22:23], v[36:37]
	v_add_f64_e32 v[22:23], v[26:27], v[32:33]
	s_delay_alu instid0(VALU_DEP_3)
	v_fma_f64 v[26:27], v[28:29], s[2:3], v[30:31]
	v_fma_f64 v[30:31], v[28:29], s[8:9], v[30:31]
	;; [unrolled: 1-line block ×4, first 2 shown]
	v_add_f64_e32 v[20:21], v[34:35], v[40:41]
	v_add_f64_e32 v[36:37], v[38:39], v[44:45]
	;; [unrolled: 1-line block ×3, first 2 shown]
	v_add_f64_e64 v[34:35], v[34:35], -v[40:41]
	s_delay_alu instid0(VALU_DEP_4) | instskip(NEXT) | instid1(VALU_DEP_4)
	v_fma_f64 v[20:21], v[20:21], -0.5, v[93:94]
	v_fma_f64 v[74:75], v[36:37], -0.5, v[95:96]
	v_add_f64_e32 v[36:37], v[95:96], v[38:39]
	s_delay_alu instid0(VALU_DEP_3) | instskip(NEXT) | instid1(VALU_DEP_2)
	v_fma_f64 v[72:73], v[62:63], s[8:9], v[20:21]
	v_add_f64_e32 v[38:39], v[36:37], v[44:45]
	v_add_f64_e32 v[36:37], v[60:61], v[40:41]
	v_fma_f64 v[60:61], v[62:63], s[2:3], v[20:21]
	v_add_f64_e32 v[20:21], v[42:43], v[48:49]
	v_fma_f64 v[62:63], v[34:35], s[8:9], v[74:75]
	v_fma_f64 v[74:75], v[34:35], s[2:3], v[74:75]
	v_add_f64_e32 v[34:35], v[46:47], v[52:53]
	v_add_f64_e32 v[44:45], v[97:98], v[42:43]
	;; [unrolled: 1-line block ×3, first 2 shown]
	v_fma_f64 v[20:21], v[20:21], -0.5, v[97:98]
	s_delay_alu instid0(VALU_DEP_4) | instskip(NEXT) | instid1(VALU_DEP_4)
	v_fma_f64 v[34:35], v[34:35], -0.5, v[99:100]
	v_add_f64_e32 v[44:45], v[44:45], v[48:49]
	v_add_f64_e64 v[48:49], v[42:43], -v[48:49]
	v_add_f64_e32 v[46:47], v[40:41], v[52:53]
	v_add_f64_e32 v[52:53], v[101:102], v[50:51]
	v_fma_f64 v[40:41], v[76:77], s[2:3], v[20:21]
	v_fma_f64 v[76:77], v[76:77], s[8:9], v[20:21]
	v_add_f64_e32 v[20:21], v[50:51], v[64:65]
	v_fma_f64 v[42:43], v[48:49], s[8:9], v[34:35]
	v_fma_f64 v[78:79], v[48:49], s[2:3], v[34:35]
	v_add_f64_e32 v[34:35], v[54:55], v[105:106]
	v_add_f64_e32 v[48:49], v[103:104], v[54:55]
	;; [unrolled: 1-line block ×3, first 2 shown]
	v_add_f64_e64 v[64:65], v[50:51], -v[64:65]
	v_fma_f64 v[20:21], v[20:21], -0.5, v[101:102]
	v_fma_f64 v[34:35], v[34:35], -0.5, v[103:104]
	v_add_f64_e32 v[54:55], v[48:49], v[105:106]
	s_delay_alu instid0(VALU_DEP_3) | instskip(SKIP_4) | instid1(VALU_DEP_3)
	v_fma_f64 v[48:49], v[80:81], s[2:3], v[20:21]
	v_fma_f64 v[80:81], v[80:81], s[8:9], v[20:21]
	v_and_b32_e32 v20, 0xff, v66
	v_fma_f64 v[50:51], v[64:65], s[8:9], v[34:35]
	v_fma_f64 v[82:83], v[64:65], s[2:3], v[34:35]
	v_lshl_add_u32 v20, v20, 4, v166
	s_mov_b32 s3, 0x3fe6a09e
	ds_store_b128 v20, v[0:3] offset:1632
	v_and_b32_e32 v0, 0xff, v67
	s_delay_alu instid0(VALU_DEP_1) | instskip(SKIP_1) | instid1(VALU_DEP_1)
	v_lshl_add_u32 v2, v0, 4, v166
	v_and_b32_e32 v0, 0xff, v68
	v_lshl_add_u32 v1, v0, 4, v166
	v_and_b32_e32 v0, 0xff, v69
	ds_store_b128 v2, v[12:15] offset:2448
	ds_store_b128 v1, v[22:25] offset:3264
	v_lshl_add_u32 v115, v0, 4, v166
	v_and_b32_e32 v0, 0xff, v70
	s_delay_alu instid0(VALU_DEP_1)
	v_lshl_add_u32 v114, v0, 4, v166
	v_and_b32_e32 v0, 0xff, v71
	ds_store_b128 v115, v[36:39] offset:4080
	ds_store_b128 v114, v[44:47] offset:4896
	v_lshl_add_u32 v113, v0, 4, v166
	ds_store_b128 v113, v[52:55] offset:5712
	ds_store_b128 v20, v[4:7] offset:1904
	scratch_store_b32 off, v20, off offset:884 ; 4-byte Folded Spill
	ds_store_b128 v20, v[56:59] offset:2176
	ds_store_b128 v2, v[8:11] offset:2720
	scratch_store_b32 off, v2, off offset:876 ; 4-byte Folded Spill
	ds_store_b128 v2, v[16:19] offset:2992
	ds_store_b128 v1, v[26:29] offset:3536
	v_mad_co_u64_u32 v[26:27], null, 0x70, v108, s[0:1]
	scratch_store_b32 off, v1, off offset:868 ; 4-byte Folded Spill
	ds_store_b128 v1, v[30:33] offset:3808
	ds_store_b128 v115, v[60:63] offset:4352
	;; [unrolled: 1-line block ×7, first 2 shown]
	global_wb scope:SCOPE_SE
	s_wait_storecnt_dscnt 0x0
	s_barrier_signal -1
	s_barrier_wait -1
	global_inv scope:SCOPE_SE
	s_clause 0x1
	global_load_b128 v[6:9], v[26:27], off offset:544
	global_load_b128 v[10:13], v[26:27], off offset:2464
	ds_load_b128 v[0:3], v164 offset:816
	s_mov_b32 s0, 0x667f3bcd
	s_mov_b32 s1, 0xbfe6a09e
	s_wait_alu 0xfffe
	s_mov_b32 s2, s0
	s_clause 0x7
	global_load_b128 v[14:17], v[26:27], off offset:2480
	global_load_b128 v[18:21], v[26:27], off offset:2496
	global_load_b128 v[22:25], v[26:27], off offset:4368
	global_load_b128 v[72:75], v[26:27], off offset:4384
	global_load_b128 v[76:79], v[26:27], off offset:4400
	global_load_b128 v[80:83], v[26:27], off offset:4416
	global_load_b128 v[84:87], v[26:27], off offset:4432
	global_load_b128 v[88:91], v[26:27], off offset:4448
	s_wait_loadcnt_dscnt 0x900
	v_mul_f64_e32 v[4:5], v[2:3], v[8:9]
	scratch_store_b128 off, v[6:9], off offset:532 ; 16-byte Folded Spill
	s_wait_loadcnt 0x8
	scratch_store_b128 off, v[10:13], off offset:772 ; 16-byte Folded Spill
	s_wait_loadcnt 0x7
	;; [unrolled: 2-line block ×9, first 2 shown]
	scratch_store_b128 off, v[88:91], off offset:804 ; 16-byte Folded Spill
	v_fma_f64 v[42:43], v[0:1], v[6:7], -v[4:5]
	v_mul_f64_e32 v[0:1], v[0:1], v[8:9]
	s_delay_alu instid0(VALU_DEP_1)
	v_fma_f64 v[44:45], v[2:3], v[6:7], v[0:1]
	global_load_b128 v[6:9], v[26:27], off offset:560
	ds_load_b128 v[0:3], v164 offset:1632
	s_wait_loadcnt_dscnt 0x0
	v_mul_f64_e32 v[4:5], v[2:3], v[8:9]
	scratch_store_b128 off, v[6:9], off offset:836 ; 16-byte Folded Spill
	v_fma_f64 v[46:47], v[0:1], v[6:7], -v[4:5]
	v_mul_f64_e32 v[0:1], v[0:1], v[8:9]
	s_delay_alu instid0(VALU_DEP_1)
	v_fma_f64 v[48:49], v[2:3], v[6:7], v[0:1]
	global_load_b128 v[6:9], v[26:27], off offset:576
	ds_load_b128 v[0:3], v164 offset:2448
	s_wait_loadcnt_dscnt 0x0
	v_mul_f64_e32 v[4:5], v[2:3], v[8:9]
	;; [unrolled: 9-line block ×4, first 2 shown]
	scratch_store_b128 off, v[6:9], off offset:660 ; 16-byte Folded Spill
	v_fma_f64 v[32:33], v[0:1], v[6:7], -v[4:5]
	v_mul_f64_e32 v[0:1], v[0:1], v[8:9]
	s_delay_alu instid0(VALU_DEP_2) | instskip(NEXT) | instid1(VALU_DEP_2)
	v_add_f64_e64 v[98:99], v[42:43], -v[32:33]
	v_fma_f64 v[34:35], v[2:3], v[6:7], v[0:1]
	global_load_b128 v[6:9], v[26:27], off offset:624
	ds_load_b128 v[0:3], v164 offset:4896
	v_add_f64_e64 v[100:101], v[44:45], -v[34:35]
	s_wait_loadcnt_dscnt 0x0
	v_mul_f64_e32 v[4:5], v[2:3], v[8:9]
	scratch_store_b128 off, v[6:9], off offset:644 ; 16-byte Folded Spill
	v_fma_f64 v[36:37], v[0:1], v[6:7], -v[4:5]
	v_mul_f64_e32 v[0:1], v[0:1], v[8:9]
	s_delay_alu instid0(VALU_DEP_2) | instskip(NEXT) | instid1(VALU_DEP_2)
	v_add_f64_e64 v[94:95], v[46:47], -v[36:37]
	v_fma_f64 v[38:39], v[2:3], v[6:7], v[0:1]
	global_load_b128 v[6:9], v[26:27], off offset:640
	ds_load_b128 v[0:3], v164 offset:5712
	v_add_f64_e64 v[96:97], v[48:49], -v[38:39]
	s_wait_loadcnt_dscnt 0x0
	v_mul_f64_e32 v[4:5], v[2:3], v[8:9]
	scratch_store_b128 off, v[6:9], off offset:676 ; 16-byte Folded Spill
	v_fma_f64 v[40:41], v[0:1], v[6:7], -v[4:5]
	v_mul_f64_e32 v[0:1], v[0:1], v[8:9]
	s_delay_alu instid0(VALU_DEP_2) | instskip(NEXT) | instid1(VALU_DEP_2)
	v_add_f64_e64 v[102:103], v[50:51], -v[40:41]
	v_fma_f64 v[54:55], v[2:3], v[6:7], v[0:1]
	global_load_b128 v[6:9], v[26:27], off offset:2448
	ds_load_b128 v[2:5], v164 offset:1088
	v_add_f64_e32 v[32:33], v[100:101], v[102:103]
	v_add_f64_e64 v[54:55], v[52:53], -v[54:55]
	s_wait_loadcnt_dscnt 0x0
	v_mul_f64_e32 v[0:1], v[4:5], v[8:9]
	scratch_store_b128 off, v[6:9], off offset:724 ; 16-byte Folded Spill
	v_fma_f64 v[0:1], v[2:3], v[6:7], -v[0:1]
	v_mul_f64_e32 v[2:3], v[2:3], v[8:9]
	s_delay_alu instid0(VALU_DEP_1) | instskip(SKIP_3) | instid1(VALU_DEP_1)
	v_fma_f64 v[2:3], v[4:5], v[6:7], v[2:3]
	ds_load_b128 v[6:9], v164 offset:1904
	s_wait_dscnt 0x0
	v_mul_f64_e32 v[4:5], v[8:9], v[12:13]
	v_fma_f64 v[4:5], v[6:7], v[10:11], -v[4:5]
	v_mul_f64_e32 v[6:7], v[6:7], v[12:13]
	s_delay_alu instid0(VALU_DEP_1) | instskip(SKIP_3) | instid1(VALU_DEP_1)
	v_fma_f64 v[6:7], v[8:9], v[10:11], v[6:7]
	ds_load_b128 v[10:13], v164 offset:2720
	s_wait_dscnt 0x0
	v_mul_f64_e32 v[8:9], v[12:13], v[16:17]
	;; [unrolled: 7-line block ×3, first 2 shown]
	v_fma_f64 v[56:57], v[12:13], v[18:19], -v[16:17]
	v_mul_f64_e32 v[12:13], v[12:13], v[20:21]
	s_delay_alu instid0(VALU_DEP_1)
	v_fma_f64 v[58:59], v[14:15], v[18:19], v[12:13]
	global_load_b128 v[18:21], v[26:27], off offset:2512
	ds_load_b128 v[12:15], v164 offset:4352
	s_wait_loadcnt_dscnt 0x0
	v_mul_f64_e32 v[16:17], v[14:15], v[20:21]
	scratch_store_b128 off, v[18:21], off offset:548 ; 16-byte Folded Spill
	v_fma_f64 v[60:61], v[12:13], v[18:19], -v[16:17]
	v_mul_f64_e32 v[12:13], v[12:13], v[20:21]
	s_delay_alu instid0(VALU_DEP_2) | instskip(NEXT) | instid1(VALU_DEP_2)
	v_add_f64_e64 v[60:61], v[0:1], -v[60:61]
	v_fma_f64 v[62:63], v[14:15], v[18:19], v[12:13]
	global_load_b128 v[18:21], v[26:27], off offset:2528
	ds_load_b128 v[12:15], v164 offset:5168
	v_fma_f64 v[0:1], v[0:1], 2.0, -v[60:61]
	v_add_f64_e64 v[62:63], v[2:3], -v[62:63]
	s_delay_alu instid0(VALU_DEP_1)
	v_fma_f64 v[2:3], v[2:3], 2.0, -v[62:63]
	s_wait_loadcnt_dscnt 0x0
	v_mul_f64_e32 v[16:17], v[14:15], v[20:21]
	scratch_store_b128 off, v[18:21], off offset:612 ; 16-byte Folded Spill
	v_fma_f64 v[64:65], v[12:13], v[18:19], -v[16:17]
	v_mul_f64_e32 v[12:13], v[12:13], v[20:21]
	s_delay_alu instid0(VALU_DEP_2) | instskip(NEXT) | instid1(VALU_DEP_2)
	v_add_f64_e64 v[64:65], v[4:5], -v[64:65]
	v_fma_f64 v[66:67], v[14:15], v[18:19], v[12:13]
	global_load_b128 v[18:21], v[26:27], off offset:2544
	ds_load_b128 v[12:15], v164 offset:5984
	v_fma_f64 v[4:5], v[4:5], 2.0, -v[64:65]
	v_add_f64_e64 v[66:67], v[6:7], -v[66:67]
	s_delay_alu instid0(VALU_DEP_1)
	v_fma_f64 v[6:7], v[6:7], 2.0, -v[66:67]
	s_wait_loadcnt_dscnt 0x0
	v_mul_f64_e32 v[16:17], v[14:15], v[20:21]
	scratch_store_b128 off, v[18:21], off offset:580 ; 16-byte Folded Spill
	v_fma_f64 v[68:69], v[12:13], v[18:19], -v[16:17]
	v_mul_f64_e32 v[12:13], v[12:13], v[20:21]
	s_delay_alu instid0(VALU_DEP_2) | instskip(NEXT) | instid1(VALU_DEP_2)
	v_add_f64_e64 v[68:69], v[8:9], -v[68:69]
	v_fma_f64 v[70:71], v[14:15], v[18:19], v[12:13]
	global_load_b128 v[18:21], v[26:27], off offset:4352
	ds_load_b128 v[14:17], v164 offset:1360
	v_add_f64_e32 v[40:41], v[62:63], v[68:69]
	v_add_f64_e64 v[70:71], v[10:11], -v[70:71]
	v_fma_f64 v[8:9], v[8:9], 2.0, -v[68:69]
	s_delay_alu instid0(VALU_DEP_2)
	v_add_f64_e64 v[38:39], v[60:61], -v[70:71]
	v_fma_f64 v[10:11], v[10:11], 2.0, -v[70:71]
	s_wait_loadcnt_dscnt 0x0
	v_mul_f64_e32 v[12:13], v[16:17], v[20:21]
	scratch_store_b128 off, v[18:21], off offset:596 ; 16-byte Folded Spill
	v_fma_f64 v[12:13], v[14:15], v[18:19], -v[12:13]
	v_mul_f64_e32 v[14:15], v[14:15], v[20:21]
	s_delay_alu instid0(VALU_DEP_1) | instskip(SKIP_3) | instid1(VALU_DEP_1)
	v_fma_f64 v[14:15], v[16:17], v[18:19], v[14:15]
	ds_load_b128 v[18:21], v164 offset:2176
	s_wait_dscnt 0x0
	v_mul_f64_e32 v[16:17], v[20:21], v[24:25]
	v_fma_f64 v[16:17], v[18:19], v[22:23], -v[16:17]
	v_mul_f64_e32 v[18:19], v[18:19], v[24:25]
	s_delay_alu instid0(VALU_DEP_1) | instskip(SKIP_3) | instid1(VALU_DEP_1)
	v_fma_f64 v[18:19], v[20:21], v[22:23], v[18:19]
	ds_load_b128 v[22:25], v164 offset:2992
	s_wait_dscnt 0x0
	v_mul_f64_e32 v[20:21], v[24:25], v[74:75]
	;; [unrolled: 7-line block ×4, first 2 shown]
	v_fma_f64 v[78:79], v[22:23], v[80:81], -v[78:79]
	v_mul_f64_e32 v[22:23], v[22:23], v[82:83]
	s_delay_alu instid0(VALU_DEP_2) | instskip(NEXT) | instid1(VALU_DEP_2)
	v_add_f64_e64 v[78:79], v[12:13], -v[78:79]
	v_fma_f64 v[80:81], v[24:25], v[80:81], v[22:23]
	ds_load_b128 v[22:25], v164 offset:5440
	s_wait_dscnt 0x0
	v_mul_f64_e32 v[82:83], v[24:25], v[86:87]
	v_add_f64_e64 v[80:81], v[14:15], -v[80:81]
	s_delay_alu instid0(VALU_DEP_2) | instskip(SKIP_1) | instid1(VALU_DEP_2)
	v_fma_f64 v[82:83], v[22:23], v[84:85], -v[82:83]
	v_mul_f64_e32 v[22:23], v[22:23], v[86:87]
	v_add_f64_e64 v[82:83], v[16:17], -v[82:83]
	s_delay_alu instid0(VALU_DEP_2) | instskip(SKIP_4) | instid1(VALU_DEP_2)
	v_fma_f64 v[84:85], v[24:25], v[84:85], v[22:23]
	ds_load_b128 v[22:25], v164 offset:6256
	s_wait_dscnt 0x0
	v_mul_f64_e32 v[26:27], v[24:25], v[90:91]
	v_add_f64_e64 v[84:85], v[18:19], -v[84:85]
	v_fma_f64 v[86:87], v[22:23], v[88:89], -v[26:27]
	v_mul_f64_e32 v[22:23], v[22:23], v[90:91]
	s_delay_alu instid0(VALU_DEP_2) | instskip(NEXT) | instid1(VALU_DEP_2)
	v_add_f64_e64 v[86:87], v[20:21], -v[86:87]
	v_fma_f64 v[88:89], v[24:25], v[88:89], v[22:23]
	ds_load_b128 v[22:25], v164
	s_wait_dscnt 0x0
	v_add_f64_e64 v[26:27], v[22:23], -v[28:29]
	v_add_f64_e64 v[28:29], v[24:25], -v[30:31]
	;; [unrolled: 1-line block ×4, first 2 shown]
	s_delay_alu instid0(VALU_DEP_4) | instskip(NEXT) | instid1(VALU_DEP_4)
	v_add_f64_e64 v[104:105], v[26:27], -v[96:97]
	v_add_f64_e32 v[106:107], v[28:29], v[94:95]
	v_fma_f64 v[90:91], v[22:23], 2.0, -v[26:27]
	v_fma_f64 v[92:93], v[24:25], 2.0, -v[28:29]
	s_wait_alu 0xfffe
	s_delay_alu instid0(VALU_DEP_4) | instskip(NEXT) | instid1(VALU_DEP_4)
	v_fma_f64 v[22:23], v[30:31], s[2:3], v[104:105]
	v_fma_f64 v[24:25], v[32:33], s[2:3], v[106:107]
	v_fma_f64 v[116:117], v[26:27], 2.0, -v[104:105]
	v_fma_f64 v[118:119], v[28:29], 2.0, -v[106:107]
	;; [unrolled: 1-line block ×4, first 2 shown]
	v_fma_f64 v[22:23], v[32:33], s[0:1], v[22:23]
	v_fma_f64 v[24:25], v[30:31], s[2:3], v[24:25]
	s_delay_alu instid0(VALU_DEP_4) | instskip(NEXT) | instid1(VALU_DEP_4)
	v_fma_f64 v[30:31], v[28:29], s[0:1], v[116:117]
	v_fma_f64 v[32:33], v[26:27], s[0:1], v[118:119]
	s_delay_alu instid0(VALU_DEP_2) | instskip(NEXT) | instid1(VALU_DEP_2)
	v_fma_f64 v[26:27], v[26:27], s[0:1], v[30:31]
	v_fma_f64 v[28:29], v[28:29], s[2:3], v[32:33]
	ds_load_b128 v[30:33], v164 offset:272
	s_wait_dscnt 0x0
	v_add_f64_e64 v[34:35], v[30:31], -v[56:57]
	v_add_f64_e64 v[36:37], v[32:33], -v[58:59]
	s_delay_alu instid0(VALU_DEP_2) | instskip(NEXT) | instid1(VALU_DEP_2)
	v_add_f64_e64 v[120:121], v[34:35], -v[66:67]
	v_add_f64_e32 v[122:123], v[36:37], v[64:65]
	v_fma_f64 v[56:57], v[30:31], 2.0, -v[34:35]
	v_fma_f64 v[58:59], v[32:33], 2.0, -v[36:37]
	s_delay_alu instid0(VALU_DEP_4) | instskip(NEXT) | instid1(VALU_DEP_4)
	v_fma_f64 v[30:31], v[38:39], s[2:3], v[120:121]
	v_fma_f64 v[32:33], v[40:41], s[2:3], v[122:123]
	v_fma_f64 v[124:125], v[34:35], 2.0, -v[120:121]
	v_fma_f64 v[126:127], v[36:37], 2.0, -v[122:123]
	v_fma_f64 v[36:37], v[60:61], 2.0, -v[38:39]
	v_fma_f64 v[34:35], v[62:63], 2.0, -v[40:41]
	v_fma_f64 v[30:31], v[40:41], s[0:1], v[30:31]
	v_fma_f64 v[32:33], v[38:39], s[2:3], v[32:33]
	s_delay_alu instid0(VALU_DEP_4) | instskip(NEXT) | instid1(VALU_DEP_4)
	v_fma_f64 v[38:39], v[36:37], s[0:1], v[124:125]
	v_fma_f64 v[40:41], v[34:35], s[0:1], v[126:127]
	s_delay_alu instid0(VALU_DEP_2) | instskip(NEXT) | instid1(VALU_DEP_2)
	v_fma_f64 v[34:35], v[34:35], s[0:1], v[38:39]
	v_fma_f64 v[36:37], v[36:37], s[2:3], v[40:41]
	ds_load_b128 v[38:41], v164 offset:544
	s_wait_dscnt 0x0
	v_add_f64_e64 v[74:75], v[38:39], -v[74:75]
	v_add_f64_e64 v[76:77], v[40:41], -v[76:77]
	s_delay_alu instid0(VALU_DEP_2) | instskip(NEXT) | instid1(VALU_DEP_2)
	v_fma_f64 v[128:129], v[38:39], 2.0, -v[74:75]
	v_fma_f64 v[130:131], v[40:41], 2.0, -v[76:77]
	v_add_f64_e64 v[132:133], v[74:75], -v[84:85]
	v_add_f64_e32 v[134:135], v[76:77], v[82:83]
	v_add_f64_e64 v[38:39], v[78:79], -v[88:89]
	v_add_f64_e32 v[40:41], v[80:81], v[86:87]
	s_delay_alu instid0(VALU_DEP_4) | instskip(NEXT) | instid1(VALU_DEP_4)
	v_fma_f64 v[74:75], v[74:75], 2.0, -v[132:133]
	v_fma_f64 v[76:77], v[76:77], 2.0, -v[134:135]
	s_delay_alu instid0(VALU_DEP_4) | instskip(NEXT) | instid1(VALU_DEP_4)
	v_fma_f64 v[136:137], v[38:39], s[2:3], v[132:133]
	v_fma_f64 v[138:139], v[40:41], s[2:3], v[134:135]
	s_delay_alu instid0(VALU_DEP_2) | instskip(NEXT) | instid1(VALU_DEP_2)
	v_fma_f64 v[252:253], v[40:41], s[0:1], v[136:137]
	v_fma_f64 v[254:255], v[38:39], s[2:3], v[138:139]
	v_fma_f64 v[38:39], v[78:79], 2.0, -v[38:39]
	v_fma_f64 v[40:41], v[80:81], 2.0, -v[40:41]
	s_delay_alu instid0(VALU_DEP_2) | instskip(NEXT) | instid1(VALU_DEP_2)
	v_fma_f64 v[136:137], v[38:39], s[0:1], v[74:75]
	v_fma_f64 v[138:139], v[40:41], s[0:1], v[76:77]
	s_delay_alu instid0(VALU_DEP_2) | instskip(NEXT) | instid1(VALU_DEP_2)
	v_fma_f64 v[248:249], v[40:41], s[0:1], v[136:137]
	v_fma_f64 v[250:251], v[38:39], s[2:3], v[138:139]
	v_fma_f64 v[38:39], v[46:47], 2.0, -v[94:95]
	v_fma_f64 v[40:41], v[48:49], 2.0, -v[96:97]
	;; [unrolled: 1-line block ×6, first 2 shown]
	s_add_nc_u64 s[0:1], s[12:13], 0x1980
	v_add_f64_e64 v[50:51], v[90:91], -v[38:39]
	v_add_f64_e64 v[52:53], v[92:93], -v[40:41]
	s_delay_alu instid0(VALU_DEP_4) | instskip(NEXT) | instid1(VALU_DEP_4)
	v_add_f64_e64 v[54:55], v[48:49], -v[42:43]
	v_add_f64_e64 v[94:95], v[46:47], -v[44:45]
	s_delay_alu instid0(VALU_DEP_2) | instskip(NEXT) | instid1(VALU_DEP_2)
	v_add_f64_e64 v[38:39], v[50:51], -v[54:55]
	v_add_f64_e32 v[40:41], v[52:53], v[94:95]
	s_delay_alu instid0(VALU_DEP_2) | instskip(NEXT) | instid1(VALU_DEP_2)
	v_fma_f64 v[42:43], v[50:51], 2.0, -v[38:39]
	v_fma_f64 v[44:45], v[52:53], 2.0, -v[40:41]
	ds_store_b128 v164, v[38:41] offset:4896
	v_fma_f64 v[38:39], v[104:105], 2.0, -v[22:23]
	v_fma_f64 v[40:41], v[106:107], 2.0, -v[24:25]
	ds_store_b128 v164, v[22:25] offset:5712
	ds_store_b128 v164, v[42:45] offset:1632
	ds_store_b128 v164, v[38:41] offset:2448
	v_fma_f64 v[38:39], v[90:91], 2.0, -v[50:51]
	v_fma_f64 v[40:41], v[92:93], 2.0, -v[52:53]
	;; [unrolled: 1-line block ×4, first 2 shown]
	s_delay_alu instid0(VALU_DEP_2) | instskip(NEXT) | instid1(VALU_DEP_2)
	v_add_f64_e64 v[22:23], v[38:39], -v[22:23]
	v_add_f64_e64 v[24:25], v[40:41], -v[24:25]
	s_delay_alu instid0(VALU_DEP_2) | instskip(NEXT) | instid1(VALU_DEP_2)
	v_fma_f64 v[38:39], v[38:39], 2.0, -v[22:23]
	v_fma_f64 v[40:41], v[40:41], 2.0, -v[24:25]
	ds_store_b128 v164, v[22:25] offset:3264
	v_fma_f64 v[22:23], v[116:117], 2.0, -v[26:27]
	v_fma_f64 v[24:25], v[118:119], 2.0, -v[28:29]
	ds_store_b128 v164, v[26:29] offset:4080
	ds_store_b128 v164, v[38:41]
	v_add_f64_e64 v[26:27], v[56:57], -v[4:5]
	v_add_f64_e64 v[28:29], v[58:59], -v[6:7]
	;; [unrolled: 1-line block ×4, first 2 shown]
	v_fma_f64 v[8:9], v[12:13], 2.0, -v[78:79]
	v_fma_f64 v[10:11], v[14:15], 2.0, -v[80:81]
	;; [unrolled: 1-line block ×8, first 2 shown]
	s_delay_alu instid0(VALU_DEP_2) | instskip(NEXT) | instid1(VALU_DEP_2)
	v_add_f64_e64 v[0:1], v[4:5], -v[0:1]
	v_add_f64_e64 v[2:3], v[6:7], -v[2:3]
	s_delay_alu instid0(VALU_DEP_2) | instskip(NEXT) | instid1(VALU_DEP_2)
	v_fma_f64 v[4:5], v[4:5], 2.0, -v[0:1]
	v_fma_f64 v[6:7], v[6:7], 2.0, -v[2:3]
	ds_store_b128 v164, v[4:7] offset:272
	ds_store_b128 v164, v[22:25] offset:816
	v_fma_f64 v[4:5], v[16:17], 2.0, -v[82:83]
	v_fma_f64 v[6:7], v[18:19], 2.0, -v[84:85]
	v_add_f64_e64 v[18:19], v[8:9], -v[12:13]
	v_add_f64_e64 v[16:17], v[10:11], -v[14:15]
	s_delay_alu instid0(VALU_DEP_4) | instskip(NEXT) | instid1(VALU_DEP_4)
	v_add_f64_e64 v[20:21], v[128:129], -v[4:5]
	v_add_f64_e64 v[22:23], v[130:131], -v[6:7]
	s_delay_alu instid0(VALU_DEP_4) | instskip(NEXT) | instid1(VALU_DEP_4)
	v_fma_f64 v[4:5], v[8:9], 2.0, -v[18:19]
	v_fma_f64 v[6:7], v[10:11], 2.0, -v[16:17]
	s_delay_alu instid0(VALU_DEP_4) | instskip(NEXT) | instid1(VALU_DEP_4)
	v_fma_f64 v[12:13], v[128:129], 2.0, -v[20:21]
	v_fma_f64 v[14:15], v[130:131], 2.0, -v[22:23]
	v_add_f64_e64 v[16:17], v[20:21], -v[16:17]
	v_add_f64_e32 v[18:19], v[22:23], v[18:19]
	s_delay_alu instid0(VALU_DEP_4) | instskip(NEXT) | instid1(VALU_DEP_4)
	v_add_f64_e64 v[4:5], v[12:13], -v[4:5]
	v_add_f64_e64 v[6:7], v[14:15], -v[6:7]
	s_delay_alu instid0(VALU_DEP_2) | instskip(NEXT) | instid1(VALU_DEP_2)
	v_fma_f64 v[8:9], v[12:13], 2.0, -v[4:5]
	v_fma_f64 v[10:11], v[14:15], 2.0, -v[6:7]
	ds_store_b128 v164, v[8:11] offset:544
	v_fma_f64 v[8:9], v[124:125], 2.0, -v[34:35]
	v_fma_f64 v[10:11], v[126:127], 2.0, -v[36:37]
	ds_store_b128 v167, v[8:11] offset:1088
	v_add_f64_e64 v[8:9], v[26:27], -v[40:41]
	v_add_f64_e32 v[10:11], v[28:29], v[38:39]
	s_delay_alu instid0(VALU_DEP_2) | instskip(NEXT) | instid1(VALU_DEP_2)
	v_fma_f64 v[12:13], v[26:27], 2.0, -v[8:9]
	v_fma_f64 v[14:15], v[28:29], 2.0, -v[10:11]
	ds_store_b128 v167, v[12:15] offset:1904
	v_fma_f64 v[12:13], v[120:121], 2.0, -v[30:31]
	v_fma_f64 v[14:15], v[122:123], 2.0, -v[32:33]
	ds_store_b128 v167, v[12:15] offset:2720
	ds_store_b128 v167, v[0:3] offset:3536
	;; [unrolled: 1-line block ×5, first 2 shown]
	v_fma_f64 v[8:9], v[74:75], 2.0, -v[248:249]
	v_fma_f64 v[10:11], v[76:77], 2.0, -v[250:251]
	;; [unrolled: 1-line block ×6, first 2 shown]
	ds_store_b128 v167, v[8:11] offset:1360
	ds_store_b128 v167, v[0:3] offset:2176
	;; [unrolled: 1-line block ×7, first 2 shown]
	global_wb scope:SCOPE_SE
	s_wait_storecnt_dscnt 0x0
	s_barrier_signal -1
	s_barrier_wait -1
	global_inv scope:SCOPE_SE
	scratch_load_b64 v[20:21], off, off     ; 8-byte Folded Reload
	ds_load_b128 v[24:27], v164
	ds_load_b128 v[42:45], v164 offset:1152
	ds_load_b128 v[60:63], v164 offset:2304
	ds_load_b128 v[66:69], v164 offset:2688
	ds_load_b128 v[72:75], v164 offset:3072
	ds_load_b128 v[78:81], v164 offset:3456
	ds_load_b128 v[84:87], v164 offset:3840
	ds_load_b128 v[90:93], v164 offset:4224
	ds_load_b128 v[96:99], v164 offset:4608
	ds_load_b128 v[102:105], v164 offset:4992
	ds_load_b128 v[116:119], v164 offset:5376
	ds_load_b128 v[120:123], v164 offset:5760
	ds_load_b128 v[124:127], v164 offset:6144
	ds_load_b128 v[48:51], v164 offset:1536
	ds_load_b128 v[54:57], v164 offset:1920
	s_wait_loadcnt 0x0
	global_load_b128 v[20:23], v[20:21], off offset:6528
	s_wait_loadcnt_dscnt 0xe
	v_mul_f64_e32 v[28:29], v[26:27], v[22:23]
	v_mul_f64_e32 v[30:31], v[24:25], v[22:23]
	s_delay_alu instid0(VALU_DEP_2) | instskip(NEXT) | instid1(VALU_DEP_2)
	v_fma_f64 v[22:23], v[24:25], v[20:21], -v[28:29]
	v_fma_f64 v[24:25], v[26:27], v[20:21], v[30:31]
	v_lshlrev_b32_e32 v20, 4, v108
	ds_load_b128 v[30:33], v164 offset:384
	global_load_b128 v[26:29], v20, s[0:1] offset:384
	s_wait_loadcnt_dscnt 0x0
	v_mul_f64_e32 v[34:35], v[32:33], v[28:29]
	v_mul_f64_e32 v[36:37], v[30:31], v[28:29]
	s_delay_alu instid0(VALU_DEP_2) | instskip(NEXT) | instid1(VALU_DEP_2)
	v_fma_f64 v[28:29], v[30:31], v[26:27], -v[34:35]
	v_fma_f64 v[30:31], v[32:33], v[26:27], v[36:37]
	global_load_b128 v[32:35], v20, s[0:1] offset:768
	ds_load_b128 v[36:39], v164 offset:768
	s_wait_loadcnt_dscnt 0x0
	v_mul_f64_e32 v[26:27], v[38:39], v[34:35]
	v_mul_f64_e32 v[40:41], v[36:37], v[34:35]
	s_delay_alu instid0(VALU_DEP_2) | instskip(NEXT) | instid1(VALU_DEP_2)
	v_fma_f64 v[34:35], v[36:37], v[32:33], -v[26:27]
	v_fma_f64 v[36:37], v[38:39], v[32:33], v[40:41]
	global_load_b128 v[38:41], v20, s[0:1] offset:1152
	s_wait_loadcnt 0x0
	v_mul_f64_e32 v[26:27], v[44:45], v[40:41]
	v_mul_f64_e32 v[32:33], v[42:43], v[40:41]
	s_delay_alu instid0(VALU_DEP_2) | instskip(NEXT) | instid1(VALU_DEP_2)
	v_fma_f64 v[40:41], v[42:43], v[38:39], -v[26:27]
	v_fma_f64 v[42:43], v[44:45], v[38:39], v[32:33]
	global_load_b128 v[44:47], v20, s[0:1] offset:1536
	s_wait_loadcnt 0x0
	v_mul_f64_e32 v[26:27], v[50:51], v[46:47]
	v_mul_f64_e32 v[32:33], v[48:49], v[46:47]
	s_delay_alu instid0(VALU_DEP_2) | instskip(NEXT) | instid1(VALU_DEP_2)
	v_fma_f64 v[46:47], v[48:49], v[44:45], -v[26:27]
	v_fma_f64 v[48:49], v[50:51], v[44:45], v[32:33]
	global_load_b128 v[50:53], v20, s[0:1] offset:1920
	s_wait_loadcnt 0x0
	v_mul_f64_e32 v[26:27], v[56:57], v[52:53]
	v_mul_f64_e32 v[32:33], v[54:55], v[52:53]
	s_delay_alu instid0(VALU_DEP_2) | instskip(NEXT) | instid1(VALU_DEP_2)
	v_fma_f64 v[52:53], v[54:55], v[50:51], -v[26:27]
	v_fma_f64 v[54:55], v[56:57], v[50:51], v[32:33]
	global_load_b128 v[56:59], v20, s[0:1] offset:2304
	s_wait_loadcnt 0x0
	v_mul_f64_e32 v[26:27], v[62:63], v[58:59]
	v_mul_f64_e32 v[32:33], v[60:61], v[58:59]
	s_delay_alu instid0(VALU_DEP_2) | instskip(NEXT) | instid1(VALU_DEP_2)
	v_fma_f64 v[58:59], v[60:61], v[56:57], -v[26:27]
	v_fma_f64 v[60:61], v[62:63], v[56:57], v[32:33]
	global_load_b128 v[62:65], v20, s[0:1] offset:2688
	s_wait_loadcnt 0x0
	v_mul_f64_e32 v[26:27], v[68:69], v[64:65]
	v_mul_f64_e32 v[32:33], v[66:67], v[64:65]
	s_delay_alu instid0(VALU_DEP_2) | instskip(NEXT) | instid1(VALU_DEP_2)
	v_fma_f64 v[64:65], v[66:67], v[62:63], -v[26:27]
	v_fma_f64 v[66:67], v[68:69], v[62:63], v[32:33]
	global_load_b128 v[68:71], v20, s[0:1] offset:3072
	s_wait_loadcnt 0x0
	v_mul_f64_e32 v[26:27], v[74:75], v[70:71]
	v_mul_f64_e32 v[32:33], v[72:73], v[70:71]
	s_delay_alu instid0(VALU_DEP_2) | instskip(NEXT) | instid1(VALU_DEP_2)
	v_fma_f64 v[70:71], v[72:73], v[68:69], -v[26:27]
	v_fma_f64 v[72:73], v[74:75], v[68:69], v[32:33]
	global_load_b128 v[74:77], v20, s[0:1] offset:3456
	s_wait_loadcnt 0x0
	v_mul_f64_e32 v[26:27], v[80:81], v[76:77]
	v_mul_f64_e32 v[32:33], v[78:79], v[76:77]
	s_delay_alu instid0(VALU_DEP_2) | instskip(NEXT) | instid1(VALU_DEP_2)
	v_fma_f64 v[76:77], v[78:79], v[74:75], -v[26:27]
	v_fma_f64 v[78:79], v[80:81], v[74:75], v[32:33]
	global_load_b128 v[80:83], v20, s[0:1] offset:3840
	s_wait_loadcnt 0x0
	v_mul_f64_e32 v[26:27], v[86:87], v[82:83]
	v_mul_f64_e32 v[32:33], v[84:85], v[82:83]
	s_delay_alu instid0(VALU_DEP_2) | instskip(NEXT) | instid1(VALU_DEP_2)
	v_fma_f64 v[82:83], v[84:85], v[80:81], -v[26:27]
	v_fma_f64 v[84:85], v[86:87], v[80:81], v[32:33]
	global_load_b128 v[86:89], v20, s[0:1] offset:4224
	s_wait_loadcnt 0x0
	v_mul_f64_e32 v[26:27], v[92:93], v[88:89]
	v_mul_f64_e32 v[32:33], v[90:91], v[88:89]
	s_delay_alu instid0(VALU_DEP_2) | instskip(NEXT) | instid1(VALU_DEP_2)
	v_fma_f64 v[88:89], v[90:91], v[86:87], -v[26:27]
	v_fma_f64 v[90:91], v[92:93], v[86:87], v[32:33]
	global_load_b128 v[92:95], v20, s[0:1] offset:4608
	s_wait_loadcnt 0x0
	v_mul_f64_e32 v[26:27], v[98:99], v[94:95]
	v_mul_f64_e32 v[32:33], v[96:97], v[94:95]
	s_delay_alu instid0(VALU_DEP_2) | instskip(NEXT) | instid1(VALU_DEP_2)
	v_fma_f64 v[94:95], v[96:97], v[92:93], -v[26:27]
	v_fma_f64 v[96:97], v[98:99], v[92:93], v[32:33]
	global_load_b128 v[98:101], v20, s[0:1] offset:4992
	s_wait_loadcnt 0x0
	v_mul_f64_e32 v[26:27], v[104:105], v[100:101]
	v_mul_f64_e32 v[32:33], v[102:103], v[100:101]
	s_delay_alu instid0(VALU_DEP_2) | instskip(NEXT) | instid1(VALU_DEP_2)
	v_fma_f64 v[100:101], v[102:103], v[98:99], -v[26:27]
	v_fma_f64 v[102:103], v[104:105], v[98:99], v[32:33]
	global_load_b128 v[104:107], v20, s[0:1] offset:5376
	s_wait_loadcnt 0x0
	v_mul_f64_e32 v[26:27], v[118:119], v[106:107]
	v_mul_f64_e32 v[32:33], v[116:117], v[106:107]
	s_delay_alu instid0(VALU_DEP_2) | instskip(NEXT) | instid1(VALU_DEP_2)
	v_fma_f64 v[116:117], v[116:117], v[104:105], -v[26:27]
	v_fma_f64 v[118:119], v[118:119], v[104:105], v[32:33]
	global_load_b128 v[104:107], v20, s[0:1] offset:5760
	s_wait_loadcnt 0x0
	v_mul_f64_e32 v[26:27], v[122:123], v[106:107]
	v_mul_f64_e32 v[32:33], v[120:121], v[106:107]
	s_delay_alu instid0(VALU_DEP_2) | instskip(NEXT) | instid1(VALU_DEP_2)
	v_fma_f64 v[120:121], v[120:121], v[104:105], -v[26:27]
	v_fma_f64 v[122:123], v[122:123], v[104:105], v[32:33]
	global_load_b128 v[104:107], v20, s[0:1] offset:6144
	s_wait_loadcnt 0x0
	v_mul_f64_e32 v[26:27], v[126:127], v[106:107]
	v_mul_f64_e32 v[32:33], v[124:125], v[106:107]
	s_delay_alu instid0(VALU_DEP_2) | instskip(NEXT) | instid1(VALU_DEP_2)
	v_fma_f64 v[124:125], v[124:125], v[104:105], -v[26:27]
	v_fma_f64 v[126:127], v[126:127], v[104:105], v[32:33]
	ds_store_b128 v164, v[22:25]
	ds_store_b128 v164, v[28:31] offset:384
	ds_store_b128 v164, v[34:37] offset:768
	;; [unrolled: 1-line block ×16, first 2 shown]
	s_and_saveexec_b32 s2, vcc_lo
	s_cbranch_execz .LBB0_9
; %bb.8:
	s_wait_alu 0xfffe
	v_add_co_u32 v32, s0, s0, v20
	s_wait_alu 0xf1ff
	v_add_co_ci_u32_e64 v33, null, s1, 0, s0
	s_clause 0x7
	global_load_b128 v[20:23], v[32:33], off offset:272
	global_load_b128 v[24:27], v[32:33], off offset:656
	;; [unrolled: 1-line block ×8, first 2 shown]
	ds_load_b128 v[54:57], v164 offset:272
	ds_load_b128 v[58:61], v164 offset:656
	global_load_b128 v[62:65], v[32:33], off offset:3344
	ds_load_b128 v[66:69], v164 offset:1040
	s_wait_loadcnt_dscnt 0x802
	v_mul_f64_e32 v[70:71], v[56:57], v[22:23]
	v_mul_f64_e32 v[22:23], v[54:55], v[22:23]
	s_wait_loadcnt_dscnt 0x701
	v_mul_f64_e32 v[72:73], v[60:61], v[26:27]
	v_mul_f64_e32 v[26:27], v[58:59], v[26:27]
	s_delay_alu instid0(VALU_DEP_4) | instskip(NEXT) | instid1(VALU_DEP_4)
	v_fma_f64 v[54:55], v[54:55], v[20:21], -v[70:71]
	v_fma_f64 v[56:57], v[56:57], v[20:21], v[22:23]
	ds_load_b128 v[20:23], v164 offset:1424
	s_wait_loadcnt_dscnt 0x601
	v_mul_f64_e32 v[74:75], v[68:69], v[30:31]
	v_mul_f64_e32 v[30:31], v[66:67], v[30:31]
	v_fma_f64 v[58:59], v[58:59], v[24:25], -v[72:73]
	v_fma_f64 v[60:61], v[60:61], v[24:25], v[26:27]
	global_load_b128 v[24:27], v[32:33], off offset:3728
	ds_load_b128 v[70:73], v164 offset:1808
	v_fma_f64 v[66:67], v[66:67], v[28:29], -v[74:75]
	v_fma_f64 v[68:69], v[68:69], v[28:29], v[30:31]
	s_wait_loadcnt_dscnt 0x601
	v_mul_f64_e32 v[28:29], v[22:23], v[36:37]
	v_mul_f64_e32 v[30:31], v[20:21], v[36:37]
	s_delay_alu instid0(VALU_DEP_2) | instskip(NEXT) | instid1(VALU_DEP_2)
	v_fma_f64 v[20:21], v[20:21], v[34:35], -v[28:29]
	v_fma_f64 v[22:23], v[22:23], v[34:35], v[30:31]
	ds_load_b128 v[28:31], v164 offset:2192
	s_wait_loadcnt_dscnt 0x501
	v_mul_f64_e32 v[74:75], v[72:73], v[40:41]
	global_load_b128 v[34:37], v[32:33], off offset:4112
	v_mul_f64_e32 v[40:41], v[70:71], v[40:41]
	v_fma_f64 v[70:71], v[70:71], v[38:39], -v[74:75]
	s_wait_loadcnt_dscnt 0x500
	v_mul_f64_e32 v[74:75], v[30:31], v[44:45]
	v_mul_f64_e32 v[44:45], v[28:29], v[44:45]
	s_delay_alu instid0(VALU_DEP_4)
	v_fma_f64 v[72:73], v[72:73], v[38:39], v[40:41]
	ds_load_b128 v[38:41], v164 offset:2576
	v_fma_f64 v[28:29], v[28:29], v[42:43], -v[74:75]
	v_fma_f64 v[30:31], v[30:31], v[42:43], v[44:45]
	global_load_b128 v[42:45], v[32:33], off offset:4496
	s_wait_loadcnt_dscnt 0x500
	v_mul_f64_e32 v[74:75], v[40:41], v[48:49]
	v_mul_f64_e32 v[48:49], v[38:39], v[48:49]
	s_delay_alu instid0(VALU_DEP_2) | instskip(NEXT) | instid1(VALU_DEP_2)
	v_fma_f64 v[38:39], v[38:39], v[46:47], -v[74:75]
	v_fma_f64 v[40:41], v[40:41], v[46:47], v[48:49]
	ds_load_b128 v[46:49], v164 offset:2960
	s_wait_loadcnt_dscnt 0x400
	v_mul_f64_e32 v[74:75], v[48:49], v[52:53]
	v_mul_f64_e32 v[52:53], v[46:47], v[52:53]
	s_delay_alu instid0(VALU_DEP_2) | instskip(NEXT) | instid1(VALU_DEP_2)
	v_fma_f64 v[46:47], v[46:47], v[50:51], -v[74:75]
	v_fma_f64 v[48:49], v[48:49], v[50:51], v[52:53]
	ds_load_b128 v[50:53], v164 offset:3344
	s_wait_loadcnt_dscnt 0x300
	v_mul_f64_e32 v[74:75], v[52:53], v[64:65]
	v_mul_f64_e32 v[64:65], v[50:51], v[64:65]
	s_delay_alu instid0(VALU_DEP_2) | instskip(NEXT) | instid1(VALU_DEP_2)
	v_fma_f64 v[50:51], v[50:51], v[62:63], -v[74:75]
	v_fma_f64 v[52:53], v[52:53], v[62:63], v[64:65]
	ds_load_b128 v[62:65], v164 offset:3728
	s_wait_loadcnt_dscnt 0x200
	v_mul_f64_e32 v[74:75], v[64:65], v[26:27]
	v_mul_f64_e32 v[26:27], v[62:63], v[26:27]
	s_delay_alu instid0(VALU_DEP_2) | instskip(NEXT) | instid1(VALU_DEP_2)
	v_fma_f64 v[62:63], v[62:63], v[24:25], -v[74:75]
	v_fma_f64 v[64:65], v[64:65], v[24:25], v[26:27]
	ds_load_b128 v[24:27], v164 offset:4112
	s_wait_loadcnt_dscnt 0x100
	v_mul_f64_e32 v[74:75], v[26:27], v[36:37]
	v_mul_f64_e32 v[36:37], v[24:25], v[36:37]
	s_delay_alu instid0(VALU_DEP_2) | instskip(NEXT) | instid1(VALU_DEP_2)
	v_fma_f64 v[24:25], v[24:25], v[34:35], -v[74:75]
	v_fma_f64 v[26:27], v[26:27], v[34:35], v[36:37]
	ds_load_b128 v[34:37], v164 offset:4496
	s_wait_loadcnt_dscnt 0x0
	v_mul_f64_e32 v[74:75], v[36:37], v[44:45]
	v_mul_f64_e32 v[44:45], v[34:35], v[44:45]
	s_delay_alu instid0(VALU_DEP_2) | instskip(NEXT) | instid1(VALU_DEP_2)
	v_fma_f64 v[34:35], v[34:35], v[42:43], -v[74:75]
	v_fma_f64 v[36:37], v[36:37], v[42:43], v[44:45]
	global_load_b128 v[42:45], v[32:33], off offset:4880
	ds_load_b128 v[74:77], v164 offset:4880
	s_wait_loadcnt_dscnt 0x0
	v_mul_f64_e32 v[78:79], v[76:77], v[44:45]
	v_mul_f64_e32 v[44:45], v[74:75], v[44:45]
	s_delay_alu instid0(VALU_DEP_2) | instskip(NEXT) | instid1(VALU_DEP_2)
	v_fma_f64 v[74:75], v[74:75], v[42:43], -v[78:79]
	v_fma_f64 v[76:77], v[76:77], v[42:43], v[44:45]
	global_load_b128 v[42:45], v[32:33], off offset:5264
	ds_load_b128 v[78:81], v164 offset:5264
	;; [unrolled: 8-line block ×5, first 2 shown]
	s_wait_loadcnt_dscnt 0x0
	v_mul_f64_e32 v[32:33], v[92:93], v[44:45]
	v_mul_f64_e32 v[44:45], v[90:91], v[44:45]
	s_delay_alu instid0(VALU_DEP_2) | instskip(NEXT) | instid1(VALU_DEP_2)
	v_fma_f64 v[90:91], v[90:91], v[42:43], -v[32:33]
	v_fma_f64 v[92:93], v[92:93], v[42:43], v[44:45]
	ds_store_b128 v164, v[54:57] offset:272
	ds_store_b128 v164, v[58:61] offset:656
	;; [unrolled: 1-line block ×17, first 2 shown]
.LBB0_9:
	s_wait_alu 0xfffe
	s_or_b32 exec_lo, exec_lo, s2
	global_wb scope:SCOPE_SE
	s_wait_dscnt 0x0
	s_barrier_signal -1
	s_barrier_wait -1
	global_inv scope:SCOPE_SE
	ds_load_b128 v[20:23], v164
	ds_load_b128 v[24:27], v164 offset:384
	ds_load_b128 v[28:31], v164 offset:768
	;; [unrolled: 1-line block ×16, first 2 shown]
	s_and_saveexec_b32 s0, vcc_lo
	s_cbranch_execz .LBB0_11
; %bb.10:
	v_lshl_add_u32 v8, v108, 4, v166
	ds_load_b128 v[0:3], v8 offset:656
	ds_load_b128 v[12:15], v8 offset:1040
	;; [unrolled: 1-line block ×7, first 2 shown]
	s_wait_dscnt 0x0
	scratch_store_b128 off, v[88:91], off offset:60 ; 16-byte Folded Spill
	ds_load_b128 v[88:91], v8 offset:3344
	s_wait_dscnt 0x0
	scratch_store_b128 off, v[88:91], off offset:92 ; 16-byte Folded Spill
	ds_load_b128 v[88:91], v8 offset:3728
	;; [unrolled: 3-line block ×7, first 2 shown]
	ds_load_b128 v[219:222], v8 offset:6032
	ds_load_b128 v[214:217], v8 offset:6416
	;; [unrolled: 1-line block ×3, first 2 shown]
.LBB0_11:
	s_wait_alu 0xfffe
	s_or_b32 exec_lo, exec_lo, s0
	s_wait_dscnt 0xf
	v_add_f64_e32 v[88:89], v[20:21], v[24:25]
	v_add_f64_e32 v[90:91], v[22:23], v[26:27]
	s_wait_dscnt 0x7
	v_add_f64_e32 v[94:95], v[86:87], v[82:83]
	s_wait_dscnt 0x4
	v_add_f64_e32 v[116:117], v[54:55], v[62:63]
	v_add_f64_e64 v[126:127], v[54:55], -v[62:63]
	s_wait_dscnt 0x3
	v_add_f64_e32 v[134:135], v[46:47], v[58:59]
	v_add_f64_e64 v[136:137], v[46:47], -v[58:59]
	;; [unrolled: 3-line block ×3, first 2 shown]
	s_mov_b32 s28, 0x7c9e640b
	s_mov_b32 s29, 0xbfeca52d
	s_wait_dscnt 0x1
	v_add_f64_e32 v[142:143], v[30:31], v[42:43]
	v_add_f64_e64 v[144:145], v[30:31], -v[42:43]
	s_mov_b32 s22, 0x5d8e7cdc
	s_mov_b32 s54, 0x2a9d6da3
	;; [unrolled: 1-line block ×25, first 2 shown]
	v_add_f64_e32 v[88:89], v[88:89], v[28:29]
	v_add_f64_e32 v[90:91], v[90:91], v[30:31]
	s_mov_b32 s21, 0x3fedd6d0
	s_mov_b32 s19, 0x3fe7a5f6
	;; [unrolled: 1-line block ×7, first 2 shown]
	s_wait_alu 0xfffe
	s_mov_b32 s34, s40
	s_mov_b32 s42, s24
	;; [unrolled: 1-line block ×14, first 2 shown]
	global_wb scope:SCOPE_SE
	s_wait_storecnt_dscnt 0x0
	s_barrier_signal -1
	s_barrier_wait -1
	global_inv scope:SCOPE_SE
	v_add_f64_e32 v[88:89], v[88:89], v[36:37]
	v_add_f64_e32 v[90:91], v[90:91], v[38:39]
	s_delay_alu instid0(VALU_DEP_2) | instskip(NEXT) | instid1(VALU_DEP_2)
	v_add_f64_e32 v[88:89], v[88:89], v[44:45]
	v_add_f64_e32 v[90:91], v[90:91], v[46:47]
	s_delay_alu instid0(VALU_DEP_2) | instskip(NEXT) | instid1(VALU_DEP_2)
	v_add_f64_e32 v[88:89], v[88:89], v[52:53]
	v_add_f64_e32 v[90:91], v[90:91], v[54:55]
	;; [unrolled: 1-line block ×3, first 2 shown]
	s_delay_alu instid0(VALU_DEP_3) | instskip(NEXT) | instid1(VALU_DEP_3)
	v_add_f64_e32 v[88:89], v[88:89], v[64:65]
	v_add_f64_e32 v[90:91], v[90:91], v[66:67]
	s_delay_alu instid0(VALU_DEP_2) | instskip(NEXT) | instid1(VALU_DEP_2)
	v_add_f64_e32 v[88:89], v[88:89], v[72:73]
	v_add_f64_e32 v[92:93], v[90:91], v[74:75]
	s_delay_alu instid0(VALU_DEP_2) | instskip(NEXT) | instid1(VALU_DEP_2)
	v_add_f64_e32 v[90:91], v[88:89], v[84:85]
	v_add_f64_e32 v[96:97], v[92:93], v[86:87]
	;; [unrolled: 1-line block ×3, first 2 shown]
	v_add_f64_e64 v[84:85], v[84:85], -v[80:81]
	v_add_f64_e64 v[86:87], v[86:87], -v[82:83]
	v_add_f64_e32 v[88:89], v[90:91], v[80:81]
	v_add_f64_e32 v[96:97], v[96:97], v[82:83]
	;; [unrolled: 1-line block ×3, first 2 shown]
	v_add_f64_e64 v[72:73], v[72:73], -v[76:77]
	v_add_f64_e32 v[82:83], v[74:75], v[78:79]
	v_add_f64_e64 v[90:91], v[74:75], -v[78:79]
	v_add_f64_e32 v[74:75], v[64:65], v[68:69]
	v_add_f64_e64 v[64:65], v[64:65], -v[68:69]
	s_wait_alu 0xfffe
	v_mul_f64_e32 v[210:211], s[44:45], v[86:87]
	v_add_f64_e32 v[76:77], v[88:89], v[76:77]
	v_add_f64_e32 v[88:89], v[96:97], v[78:79]
	;; [unrolled: 1-line block ×3, first 2 shown]
	v_add_f64_e64 v[96:97], v[66:67], -v[70:71]
	v_add_f64_e32 v[66:67], v[52:53], v[60:61]
	v_add_f64_e64 v[52:53], v[52:53], -v[60:61]
	v_mul_f64_e32 v[206:207], s[50:51], v[90:91]
	v_mul_f64_e32 v[208:209], s[16:17], v[82:83]
	v_add_f64_e32 v[68:69], v[76:77], v[68:69]
	v_add_f64_e32 v[70:71], v[88:89], v[70:71]
	v_mul_f64_e32 v[204:205], s[12:13], v[78:79]
	s_delay_alu instid0(VALU_DEP_3) | instskip(NEXT) | instid1(VALU_DEP_3)
	v_add_f64_e32 v[68:69], v[68:69], v[60:61]
	v_add_f64_e32 v[62:63], v[70:71], v[62:63]
	v_add_f64_e64 v[60:61], v[44:45], -v[56:57]
	s_delay_alu instid0(VALU_DEP_3) | instskip(NEXT) | instid1(VALU_DEP_3)
	v_add_f64_e32 v[44:45], v[68:69], v[56:57]
	v_add_f64_e32 v[46:47], v[62:63], v[58:59]
	v_add_f64_e32 v[56:57], v[36:37], v[48:49]
	v_add_f64_e64 v[58:59], v[36:37], -v[48:49]
	v_add_f64_e32 v[62:63], v[28:29], v[40:41]
	v_add_f64_e64 v[68:69], v[28:29], -v[40:41]
	v_add_f64_e32 v[36:37], v[44:45], v[48:49]
	v_add_f64_e32 v[38:39], v[46:47], v[50:51]
	s_delay_alu instid0(VALU_DEP_2) | instskip(SKIP_1) | instid1(VALU_DEP_3)
	v_add_f64_e32 v[28:29], v[36:37], v[40:41]
	v_add_f64_e64 v[36:37], v[26:27], -v[34:35]
	v_add_f64_e32 v[30:31], v[38:39], v[42:43]
	v_add_f64_e32 v[38:39], v[24:25], v[32:33]
	;; [unrolled: 1-line block ×3, first 2 shown]
	v_add_f64_e64 v[42:43], v[24:25], -v[32:33]
	v_add_f64_e32 v[24:25], v[28:29], v[32:33]
	v_mul_f64_e32 v[32:33], s[28:29], v[36:37]
	v_add_f64_e32 v[26:27], v[30:31], v[34:35]
	v_mul_f64_e32 v[28:29], s[22:23], v[36:37]
	v_mul_f64_e32 v[30:31], s[54:55], v[36:37]
	;; [unrolled: 1-line block ×13, first 2 shown]
	v_fma_f64 v[98:99], v[38:39], s[16:17], v[32:33]
	v_fma_f64 v[32:33], v[38:39], s[16:17], -v[32:33]
	v_fma_f64 v[50:51], v[38:39], s[20:21], v[28:29]
	v_fma_f64 v[28:29], v[38:39], s[20:21], -v[28:29]
	;; [unrolled: 2-line block ×8, first 2 shown]
	v_mul_f64_e32 v[38:39], s[20:21], v[40:41]
	v_mul_f64_e32 v[40:41], s[0:1], v[40:41]
	v_fma_f64 v[152:153], v[42:43], s[34:35], v[120:121]
	v_fma_f64 v[156:157], v[42:43], s[42:43], v[124:125]
	;; [unrolled: 1-line block ×12, first 2 shown]
	v_add_f64_e32 v[172:173], v[20:21], v[98:99]
	v_mul_f64_e32 v[98:99], s[54:55], v[144:145]
	v_add_f64_e32 v[176:177], v[20:21], v[32:33]
	v_add_f64_e32 v[70:71], v[20:21], v[28:29]
	;; [unrolled: 1-line block ×12, first 2 shown]
	v_mul_f64_e32 v[100:101], s[18:19], v[142:143]
	v_mul_f64_e32 v[102:103], s[28:29], v[140:141]
	v_fma_f64 v[130:131], v[42:43], s[44:45], v[38:39]
	v_fma_f64 v[38:39], v[42:43], s[22:23], v[38:39]
	;; [unrolled: 1-line block ×4, first 2 shown]
	v_add_f64_e32 v[42:43], v[20:21], v[50:51]
	v_add_f64_e32 v[182:183], v[22:23], v[152:153]
	;; [unrolled: 1-line block ×14, first 2 shown]
	v_mul_f64_e32 v[104:105], s[16:17], v[138:139]
	v_mul_f64_e32 v[106:107], s[40:41], v[136:137]
	;; [unrolled: 1-line block ×5, first 2 shown]
	v_fma_f64 v[20:21], v[62:63], s[18:19], v[98:99]
	v_mul_f64_e32 v[124:125], s[24:25], v[96:97]
	v_mul_f64_e32 v[128:129], s[8:9], v[78:79]
	;; [unrolled: 1-line block ×8, first 2 shown]
	v_fma_f64 v[32:33], v[56:57], s[16:17], v[102:103]
	v_add_f64_e32 v[50:51], v[22:23], v[130:131]
	v_add_f64_e32 v[76:77], v[22:23], v[38:39]
	;; [unrolled: 1-line block ×5, first 2 shown]
	v_fma_f64 v[22:23], v[68:69], s[36:37], v[100:101]
	v_mul_f64_e32 v[130:131], s[30:31], v[90:91]
	v_mul_f64_e32 v[132:133], s[2:3], v[82:83]
	;; [unrolled: 1-line block ×4, first 2 shown]
	v_add_f64_e32 v[20:21], v[20:21], v[42:43]
	v_mul_f64_e32 v[42:43], s[8:9], v[138:139]
	v_add_f64_e32 v[22:23], v[22:23], v[50:51]
	v_mul_f64_e32 v[50:51], s[2:3], v[116:117]
	s_delay_alu instid0(VALU_DEP_4) | instskip(SKIP_1) | instid1(VALU_DEP_1)
	v_add_f64_e32 v[20:21], v[32:33], v[20:21]
	v_fma_f64 v[32:33], v[58:59], s[50:51], v[104:105]
	v_add_f64_e32 v[22:23], v[32:33], v[22:23]
	v_fma_f64 v[32:33], v[54:55], s[14:15], v[106:107]
	s_delay_alu instid0(VALU_DEP_1) | instskip(SKIP_1) | instid1(VALU_DEP_1)
	v_add_f64_e32 v[20:21], v[32:33], v[20:21]
	v_fma_f64 v[32:33], v[60:61], s[34:35], v[118:119]
	v_add_f64_e32 v[22:23], v[32:33], v[22:23]
	v_fma_f64 v[32:33], v[66:67], s[12:13], v[120:121]
	s_delay_alu instid0(VALU_DEP_1) | instskip(SKIP_1) | instid1(VALU_DEP_1)
	;; [unrolled: 5-line block ×5, first 2 shown]
	v_add_f64_e32 v[20:21], v[32:33], v[20:21]
	v_fma_f64 v[32:33], v[84:85], s[48:49], v[148:149]
	v_add_f64_e32 v[22:23], v[32:33], v[22:23]
	v_fma_f64 v[32:33], v[62:63], s[14:15], v[36:37]
	v_fma_f64 v[36:37], v[62:63], s[14:15], -v[36:37]
	s_delay_alu instid0(VALU_DEP_2) | instskip(SKIP_1) | instid1(VALU_DEP_3)
	v_add_f64_e32 v[28:29], v[32:33], v[28:29]
	v_fma_f64 v[32:33], v[68:69], s[34:35], v[40:41]
	v_add_f64_e32 v[30:31], v[36:37], v[30:31]
	v_fma_f64 v[36:37], v[68:69], s[40:41], v[40:41]
	s_delay_alu instid0(VALU_DEP_3) | instskip(SKIP_1) | instid1(VALU_DEP_3)
	v_add_f64_e32 v[32:33], v[32:33], v[38:39]
	v_mul_f64_e32 v[38:39], s[24:25], v[140:141]
	v_add_f64_e32 v[36:37], v[36:37], v[170:171]
	v_mul_f64_e32 v[170:171], s[36:37], v[126:127]
	s_delay_alu instid0(VALU_DEP_3) | instskip(SKIP_1) | instid1(VALU_DEP_2)
	v_fma_f64 v[34:35], v[56:57], s[8:9], v[38:39]
	v_fma_f64 v[38:39], v[56:57], s[8:9], -v[38:39]
	v_add_f64_e32 v[28:29], v[34:35], v[28:29]
	v_fma_f64 v[34:35], v[58:59], s[42:43], v[42:43]
	s_delay_alu instid0(VALU_DEP_3) | instskip(SKIP_1) | instid1(VALU_DEP_3)
	v_add_f64_e32 v[30:31], v[38:39], v[30:31]
	v_fma_f64 v[38:39], v[58:59], s[24:25], v[42:43]
	v_add_f64_e32 v[32:33], v[34:35], v[32:33]
	v_fma_f64 v[34:35], v[54:55], s[0:1], v[44:45]
	s_delay_alu instid0(VALU_DEP_3) | instskip(SKIP_2) | instid1(VALU_DEP_4)
	v_add_f64_e32 v[36:37], v[38:39], v[36:37]
	v_fma_f64 v[38:39], v[54:55], s[0:1], -v[44:45]
	v_mul_f64_e32 v[44:45], s[8:9], v[142:143]
	v_add_f64_e32 v[28:29], v[34:35], v[28:29]
	v_fma_f64 v[34:35], v[60:61], s[48:49], v[46:47]
	s_delay_alu instid0(VALU_DEP_4) | instskip(SKIP_2) | instid1(VALU_DEP_4)
	v_add_f64_e32 v[30:31], v[38:39], v[30:31]
	v_fma_f64 v[38:39], v[60:61], s[26:27], v[46:47]
	v_mul_f64_e32 v[46:47], s[48:49], v[140:141]
	v_add_f64_e32 v[32:33], v[34:35], v[32:33]
	v_fma_f64 v[34:35], v[66:67], s[2:3], v[48:49]
	s_delay_alu instid0(VALU_DEP_4)
	v_add_f64_e32 v[36:37], v[38:39], v[36:37]
	v_fma_f64 v[38:39], v[66:67], s[2:3], -v[48:49]
	v_fma_f64 v[42:43], v[56:57], s[0:1], v[46:47]
	v_mul_f64_e32 v[48:49], s[0:1], v[138:139]
	v_fma_f64 v[46:47], v[56:57], s[0:1], -v[46:47]
	v_add_f64_e32 v[28:29], v[34:35], v[28:29]
	v_fma_f64 v[34:35], v[52:53], s[30:31], v[50:51]
	v_add_f64_e32 v[30:31], v[38:39], v[30:31]
	v_fma_f64 v[38:39], v[52:53], s[38:39], v[50:51]
	v_mul_f64_e32 v[50:51], s[46:47], v[136:137]
	s_delay_alu instid0(VALU_DEP_4) | instskip(SKIP_1) | instid1(VALU_DEP_4)
	v_add_f64_e32 v[32:33], v[34:35], v[32:33]
	v_fma_f64 v[34:35], v[74:75], s[12:13], v[168:169]
	v_add_f64_e32 v[36:37], v[38:39], v[36:37]
	v_fma_f64 v[38:39], v[74:75], s[12:13], -v[168:169]
	v_mul_f64_e32 v[168:169], s[12:13], v[134:135]
	s_delay_alu instid0(VALU_DEP_4) | instskip(SKIP_1) | instid1(VALU_DEP_4)
	v_add_f64_e32 v[28:29], v[34:35], v[28:29]
	v_fma_f64 v[34:35], v[64:65], s[52:53], v[204:205]
	v_add_f64_e32 v[30:31], v[38:39], v[30:31]
	v_fma_f64 v[38:39], v[64:65], s[46:47], v[204:205]
	v_mul_f64_e32 v[204:205], s[20:21], v[78:79]
	s_delay_alu instid0(VALU_DEP_4) | instskip(SKIP_1) | instid1(VALU_DEP_4)
	v_add_f64_e32 v[32:33], v[34:35], v[32:33]
	v_fma_f64 v[34:35], v[80:81], s[16:17], v[206:207]
	v_add_f64_e32 v[36:37], v[38:39], v[36:37]
	v_fma_f64 v[38:39], v[80:81], s[16:17], -v[206:207]
	v_mul_f64_e32 v[206:207], s[40:41], v[90:91]
	s_delay_alu instid0(VALU_DEP_4) | instskip(SKIP_1) | instid1(VALU_DEP_4)
	v_add_f64_e32 v[28:29], v[34:35], v[28:29]
	v_fma_f64 v[34:35], v[72:73], s[28:29], v[208:209]
	v_add_f64_e32 v[30:31], v[38:39], v[30:31]
	v_fma_f64 v[38:39], v[72:73], s[50:51], v[208:209]
	v_mul_f64_e32 v[208:209], s[14:15], v[82:83]
	s_delay_alu instid0(VALU_DEP_4) | instskip(SKIP_1) | instid1(VALU_DEP_4)
	v_add_f64_e32 v[34:35], v[34:35], v[32:33]
	v_fma_f64 v[32:33], v[92:93], s[20:21], v[210:211]
	v_add_f64_e32 v[36:37], v[38:39], v[36:37]
	v_fma_f64 v[38:39], v[92:93], s[20:21], -v[210:211]
	v_mul_f64_e32 v[210:211], s[30:31], v[86:87]
	s_delay_alu instid0(VALU_DEP_4) | instskip(SKIP_1) | instid1(VALU_DEP_1)
	v_add_f64_e32 v[32:33], v[32:33], v[28:29]
	v_mul_f64_e32 v[28:29], s[20:21], v[94:95]
	v_fma_f64 v[40:41], v[84:85], s[44:45], v[28:29]
	v_fma_f64 v[212:213], v[84:85], s[22:23], v[28:29]
	v_add_f64_e32 v[28:29], v[38:39], v[30:31]
	s_delay_alu instid0(VALU_DEP_3)
	v_add_f64_e32 v[30:31], v[40:41], v[36:37]
	v_mul_f64_e32 v[36:37], s[24:25], v[144:145]
	v_fma_f64 v[40:41], v[68:69], s[42:43], v[44:45]
	v_fma_f64 v[44:45], v[68:69], s[24:25], v[44:45]
	v_add_f64_e32 v[34:35], v[212:213], v[34:35]
	ds_store_b128 v165, v[24:27]
	ds_store_b128 v165, v[20:23] offset:16
	ds_store_b128 v165, v[32:35] offset:32
	v_fma_f64 v[38:39], v[62:63], s[8:9], v[36:37]
	v_add_f64_e32 v[40:41], v[40:41], v[174:175]
	v_fma_f64 v[36:37], v[62:63], s[8:9], -v[36:37]
	v_add_f64_e32 v[44:45], v[44:45], v[178:179]
	v_mul_f64_e32 v[174:175], s[22:23], v[96:97]
	v_mul_f64_e32 v[178:179], s[28:29], v[126:127]
	v_add_f64_e32 v[38:39], v[38:39], v[172:173]
	v_mul_f64_e32 v[172:173], s[18:19], v[116:117]
	v_add_f64_e32 v[36:37], v[36:37], v[176:177]
	v_mul_f64_e32 v[176:177], s[20:21], v[134:135]
	s_delay_alu instid0(VALU_DEP_4) | instskip(SKIP_1) | instid1(VALU_DEP_4)
	v_add_f64_e32 v[38:39], v[42:43], v[38:39]
	v_fma_f64 v[42:43], v[58:59], s[26:27], v[48:49]
	v_add_f64_e32 v[36:37], v[46:47], v[36:37]
	v_fma_f64 v[46:47], v[58:59], s[48:49], v[48:49]
	s_delay_alu instid0(VALU_DEP_3) | instskip(SKIP_1) | instid1(VALU_DEP_3)
	v_add_f64_e32 v[40:41], v[42:43], v[40:41]
	v_fma_f64 v[42:43], v[54:55], s[12:13], v[50:51]
	v_add_f64_e32 v[44:45], v[46:47], v[44:45]
	v_fma_f64 v[46:47], v[54:55], s[12:13], -v[50:51]
	s_delay_alu instid0(VALU_DEP_3) | instskip(SKIP_1) | instid1(VALU_DEP_3)
	v_add_f64_e32 v[38:39], v[42:43], v[38:39]
	v_fma_f64 v[42:43], v[60:61], s[52:53], v[168:169]
	v_add_f64_e32 v[36:37], v[46:47], v[36:37]
	v_fma_f64 v[46:47], v[60:61], s[46:47], v[168:169]
	v_mul_f64_e32 v[168:169], s[0:1], v[142:143]
	s_delay_alu instid0(VALU_DEP_4) | instskip(SKIP_1) | instid1(VALU_DEP_4)
	v_add_f64_e32 v[40:41], v[42:43], v[40:41]
	v_fma_f64 v[42:43], v[66:67], s[18:19], v[170:171]
	v_add_f64_e32 v[44:45], v[46:47], v[44:45]
	v_fma_f64 v[46:47], v[66:67], s[18:19], -v[170:171]
	v_mul_f64_e32 v[170:171], s[46:47], v[140:141]
	v_fma_f64 v[48:49], v[68:69], s[48:49], v[168:169]
	v_fma_f64 v[168:169], v[68:69], s[26:27], v[168:169]
	v_add_f64_e32 v[38:39], v[42:43], v[38:39]
	v_fma_f64 v[42:43], v[52:53], s[54:55], v[172:173]
	v_add_f64_e32 v[36:37], v[46:47], v[36:37]
	v_fma_f64 v[46:47], v[52:53], s[36:37], v[172:173]
	v_fma_f64 v[50:51], v[56:57], s[12:13], v[170:171]
	v_mul_f64_e32 v[172:173], s[12:13], v[138:139]
	v_add_f64_e32 v[48:49], v[48:49], v[182:183]
	v_fma_f64 v[170:171], v[56:57], s[12:13], -v[170:171]
	v_add_f64_e32 v[168:169], v[168:169], v[186:187]
	v_mul_f64_e32 v[182:183], s[30:31], v[96:97]
	v_add_f64_e32 v[40:41], v[42:43], v[40:41]
	v_fma_f64 v[42:43], v[74:75], s[20:21], v[174:175]
	v_add_f64_e32 v[44:45], v[46:47], v[44:45]
	v_fma_f64 v[46:47], v[74:75], s[20:21], -v[174:175]
	v_mul_f64_e32 v[174:175], s[44:45], v[136:137]
	s_delay_alu instid0(VALU_DEP_4) | instskip(SKIP_1) | instid1(VALU_DEP_4)
	v_add_f64_e32 v[38:39], v[42:43], v[38:39]
	v_fma_f64 v[42:43], v[64:65], s[44:45], v[204:205]
	v_add_f64_e32 v[36:37], v[46:47], v[36:37]
	v_fma_f64 v[46:47], v[64:65], s[22:23], v[204:205]
	v_mul_f64_e32 v[204:205], s[2:3], v[78:79]
	s_delay_alu instid0(VALU_DEP_4) | instskip(SKIP_1) | instid1(VALU_DEP_4)
	v_add_f64_e32 v[40:41], v[42:43], v[40:41]
	v_fma_f64 v[42:43], v[80:81], s[14:15], v[206:207]
	v_add_f64_e32 v[44:45], v[46:47], v[44:45]
	v_fma_f64 v[46:47], v[80:81], s[14:15], -v[206:207]
	v_mul_f64_e32 v[206:207], s[42:43], v[90:91]
	s_delay_alu instid0(VALU_DEP_4) | instskip(SKIP_1) | instid1(VALU_DEP_4)
	v_add_f64_e32 v[38:39], v[42:43], v[38:39]
	v_fma_f64 v[42:43], v[72:73], s[34:35], v[208:209]
	v_add_f64_e32 v[36:37], v[46:47], v[36:37]
	v_fma_f64 v[46:47], v[72:73], s[40:41], v[208:209]
	v_mul_f64_e32 v[208:209], s[8:9], v[82:83]
	s_delay_alu instid0(VALU_DEP_4) | instskip(SKIP_1) | instid1(VALU_DEP_4)
	v_add_f64_e32 v[42:43], v[42:43], v[40:41]
	v_fma_f64 v[40:41], v[92:93], s[2:3], v[210:211]
	v_add_f64_e32 v[44:45], v[46:47], v[44:45]
	v_fma_f64 v[46:47], v[92:93], s[2:3], -v[210:211]
	v_mul_f64_e32 v[210:211], s[36:37], v[86:87]
	s_delay_alu instid0(VALU_DEP_4) | instskip(SKIP_1) | instid1(VALU_DEP_4)
	v_add_f64_e32 v[40:41], v[40:41], v[38:39]
	v_mul_f64_e32 v[38:39], s[2:3], v[94:95]
	v_add_f64_e32 v[36:37], v[46:47], v[36:37]
	s_delay_alu instid0(VALU_DEP_2) | instskip(SKIP_1) | instid1(VALU_DEP_2)
	v_fma_f64 v[212:213], v[84:85], s[38:39], v[38:39]
	v_fma_f64 v[38:39], v[84:85], s[30:31], v[38:39]
	v_add_f64_e32 v[42:43], v[212:213], v[42:43]
	s_delay_alu instid0(VALU_DEP_2) | instskip(SKIP_1) | instid1(VALU_DEP_1)
	v_add_f64_e32 v[38:39], v[38:39], v[44:45]
	v_mul_f64_e32 v[44:45], s[26:27], v[144:145]
	v_fma_f64 v[46:47], v[62:63], s[0:1], v[44:45]
	v_fma_f64 v[44:45], v[62:63], s[0:1], -v[44:45]
	s_delay_alu instid0(VALU_DEP_2) | instskip(NEXT) | instid1(VALU_DEP_2)
	v_add_f64_e32 v[46:47], v[46:47], v[180:181]
	v_add_f64_e32 v[44:45], v[44:45], v[184:185]
	v_mul_f64_e32 v[180:181], s[16:17], v[116:117]
	s_delay_alu instid0(VALU_DEP_3) | instskip(SKIP_1) | instid1(VALU_DEP_4)
	v_add_f64_e32 v[46:47], v[50:51], v[46:47]
	v_fma_f64 v[50:51], v[58:59], s[52:53], v[172:173]
	v_add_f64_e32 v[44:45], v[170:171], v[44:45]
	v_fma_f64 v[170:171], v[58:59], s[46:47], v[172:173]
	v_mul_f64_e32 v[172:173], s[38:39], v[144:145]
	s_delay_alu instid0(VALU_DEP_4) | instskip(SKIP_1) | instid1(VALU_DEP_4)
	v_add_f64_e32 v[48:49], v[50:51], v[48:49]
	v_fma_f64 v[50:51], v[54:55], s[20:21], v[174:175]
	v_add_f64_e32 v[168:169], v[170:171], v[168:169]
	v_fma_f64 v[170:171], v[54:55], s[20:21], -v[174:175]
	v_mul_f64_e32 v[174:175], s[2:3], v[142:143]
	s_delay_alu instid0(VALU_DEP_4) | instskip(SKIP_1) | instid1(VALU_DEP_4)
	v_add_f64_e32 v[46:47], v[50:51], v[46:47]
	v_fma_f64 v[50:51], v[60:61], s[22:23], v[176:177]
	v_add_f64_e32 v[44:45], v[170:171], v[44:45]
	v_fma_f64 v[170:171], v[60:61], s[44:45], v[176:177]
	v_mul_f64_e32 v[176:177], s[36:37], v[140:141]
	s_delay_alu instid0(VALU_DEP_4) | instskip(SKIP_1) | instid1(VALU_DEP_4)
	v_add_f64_e32 v[48:49], v[50:51], v[48:49]
	v_fma_f64 v[50:51], v[66:67], s[16:17], v[178:179]
	v_add_f64_e32 v[168:169], v[170:171], v[168:169]
	v_fma_f64 v[170:171], v[66:67], s[16:17], -v[178:179]
	v_fma_f64 v[178:179], v[56:57], s[18:19], v[176:177]
	v_fma_f64 v[176:177], v[56:57], s[18:19], -v[176:177]
	v_add_f64_e32 v[46:47], v[50:51], v[46:47]
	v_fma_f64 v[50:51], v[52:53], s[50:51], v[180:181]
	v_add_f64_e32 v[44:45], v[170:171], v[44:45]
	v_fma_f64 v[170:171], v[52:53], s[28:29], v[180:181]
	s_delay_alu instid0(VALU_DEP_3) | instskip(SKIP_1) | instid1(VALU_DEP_3)
	v_add_f64_e32 v[48:49], v[50:51], v[48:49]
	v_fma_f64 v[50:51], v[74:75], s[2:3], v[182:183]
	v_add_f64_e32 v[168:169], v[170:171], v[168:169]
	v_fma_f64 v[170:171], v[74:75], s[2:3], -v[182:183]
	s_delay_alu instid0(VALU_DEP_3) | instskip(SKIP_1) | instid1(VALU_DEP_3)
	v_add_f64_e32 v[46:47], v[50:51], v[46:47]
	v_fma_f64 v[50:51], v[64:65], s[38:39], v[204:205]
	v_add_f64_e32 v[44:45], v[170:171], v[44:45]
	v_fma_f64 v[170:171], v[64:65], s[30:31], v[204:205]
	s_delay_alu instid0(VALU_DEP_3) | instskip(SKIP_1) | instid1(VALU_DEP_3)
	v_add_f64_e32 v[48:49], v[50:51], v[48:49]
	v_fma_f64 v[50:51], v[80:81], s[8:9], v[206:207]
	v_add_f64_e32 v[168:169], v[170:171], v[168:169]
	v_fma_f64 v[170:171], v[80:81], s[8:9], -v[206:207]
	s_delay_alu instid0(VALU_DEP_3) | instskip(SKIP_1) | instid1(VALU_DEP_3)
	;; [unrolled: 10-line block ×3, first 2 shown]
	v_add_f64_e32 v[48:49], v[48:49], v[46:47]
	v_mul_f64_e32 v[46:47], s[18:19], v[94:95]
	v_add_f64_e32 v[44:45], v[170:171], v[44:45]
	v_fma_f64 v[170:171], v[68:69], s[30:31], v[174:175]
	v_fma_f64 v[174:175], v[68:69], s[38:39], v[174:175]
	s_delay_alu instid0(VALU_DEP_4) | instskip(SKIP_1) | instid1(VALU_DEP_4)
	v_fma_f64 v[212:213], v[84:85], s[54:55], v[46:47]
	v_fma_f64 v[46:47], v[84:85], s[36:37], v[46:47]
	v_add_f64_e32 v[170:171], v[170:171], v[190:191]
	s_delay_alu instid0(VALU_DEP_4) | instskip(NEXT) | instid1(VALU_DEP_4)
	v_add_f64_e32 v[174:175], v[174:175], v[194:195]
	v_add_f64_e32 v[50:51], v[212:213], v[50:51]
	s_delay_alu instid0(VALU_DEP_4) | instskip(SKIP_2) | instid1(VALU_DEP_2)
	v_add_f64_e32 v[46:47], v[46:47], v[168:169]
	v_fma_f64 v[168:169], v[62:63], s[2:3], v[172:173]
	v_fma_f64 v[172:173], v[62:63], s[2:3], -v[172:173]
	v_add_f64_e32 v[168:169], v[168:169], v[188:189]
	s_delay_alu instid0(VALU_DEP_2) | instskip(NEXT) | instid1(VALU_DEP_2)
	v_add_f64_e32 v[172:173], v[172:173], v[192:193]
	v_add_f64_e32 v[168:169], v[178:179], v[168:169]
	v_mul_f64_e32 v[178:179], s[18:19], v[138:139]
	s_delay_alu instid0(VALU_DEP_3) | instskip(NEXT) | instid1(VALU_DEP_2)
	v_add_f64_e32 v[172:173], v[176:177], v[172:173]
	v_fma_f64 v[180:181], v[58:59], s[54:55], v[178:179]
	v_fma_f64 v[176:177], v[58:59], s[36:37], v[178:179]
	s_delay_alu instid0(VALU_DEP_2) | instskip(SKIP_1) | instid1(VALU_DEP_3)
	v_add_f64_e32 v[170:171], v[180:181], v[170:171]
	v_mul_f64_e32 v[180:181], s[28:29], v[136:137]
	v_add_f64_e32 v[174:175], v[176:177], v[174:175]
	s_delay_alu instid0(VALU_DEP_2) | instskip(SKIP_2) | instid1(VALU_DEP_3)
	v_fma_f64 v[182:183], v[54:55], s[16:17], v[180:181]
	v_fma_f64 v[176:177], v[54:55], s[16:17], -v[180:181]
	v_mul_f64_e32 v[180:181], s[46:47], v[144:145]
	v_add_f64_e32 v[168:169], v[182:183], v[168:169]
	v_mul_f64_e32 v[182:183], s[16:17], v[134:135]
	s_delay_alu instid0(VALU_DEP_4) | instskip(NEXT) | instid1(VALU_DEP_2)
	v_add_f64_e32 v[172:173], v[176:177], v[172:173]
	v_fma_f64 v[184:185], v[60:61], s[50:51], v[182:183]
	v_fma_f64 v[176:177], v[60:61], s[28:29], v[182:183]
	v_mul_f64_e32 v[182:183], s[12:13], v[142:143]
	s_delay_alu instid0(VALU_DEP_3) | instskip(SKIP_1) | instid1(VALU_DEP_4)
	v_add_f64_e32 v[170:171], v[184:185], v[170:171]
	v_mul_f64_e32 v[184:185], s[26:27], v[126:127]
	v_add_f64_e32 v[174:175], v[176:177], v[174:175]
	s_delay_alu instid0(VALU_DEP_2) | instskip(SKIP_2) | instid1(VALU_DEP_3)
	v_fma_f64 v[186:187], v[66:67], s[0:1], v[184:185]
	v_fma_f64 v[176:177], v[66:67], s[0:1], -v[184:185]
	v_mul_f64_e32 v[184:185], s[22:23], v[140:141]
	v_add_f64_e32 v[168:169], v[186:187], v[168:169]
	v_mul_f64_e32 v[186:187], s[0:1], v[116:117]
	s_delay_alu instid0(VALU_DEP_4) | instskip(NEXT) | instid1(VALU_DEP_2)
	v_add_f64_e32 v[172:173], v[176:177], v[172:173]
	v_fma_f64 v[188:189], v[52:53], s[48:49], v[186:187]
	v_fma_f64 v[176:177], v[52:53], s[26:27], v[186:187]
	;; [unrolled: 1-line block ×3, first 2 shown]
	v_fma_f64 v[184:185], v[56:57], s[20:21], -v[184:185]
	s_delay_alu instid0(VALU_DEP_4) | instskip(SKIP_2) | instid1(VALU_DEP_2)
	v_add_f64_e32 v[170:171], v[188:189], v[170:171]
	v_mul_f64_e32 v[188:189], s[34:35], v[96:97]
	v_add_f64_e32 v[174:175], v[176:177], v[174:175]
	v_fma_f64 v[190:191], v[74:75], s[14:15], v[188:189]
	v_fma_f64 v[176:177], v[74:75], s[14:15], -v[188:189]
	s_delay_alu instid0(VALU_DEP_2) | instskip(SKIP_1) | instid1(VALU_DEP_3)
	v_add_f64_e32 v[168:169], v[190:191], v[168:169]
	v_mul_f64_e32 v[190:191], s[14:15], v[78:79]
	v_add_f64_e32 v[172:173], v[176:177], v[172:173]
	s_delay_alu instid0(VALU_DEP_2) | instskip(SKIP_1) | instid1(VALU_DEP_2)
	v_fma_f64 v[204:205], v[64:65], s[40:41], v[190:191]
	v_fma_f64 v[176:177], v[64:65], s[34:35], v[190:191]
	v_add_f64_e32 v[170:171], v[204:205], v[170:171]
	v_mul_f64_e32 v[204:205], s[22:23], v[90:91]
	s_delay_alu instid0(VALU_DEP_3) | instskip(NEXT) | instid1(VALU_DEP_2)
	v_add_f64_e32 v[174:175], v[176:177], v[174:175]
	v_fma_f64 v[206:207], v[80:81], s[20:21], v[204:205]
	v_fma_f64 v[176:177], v[80:81], s[20:21], -v[204:205]
	s_delay_alu instid0(VALU_DEP_2) | instskip(SKIP_1) | instid1(VALU_DEP_3)
	v_add_f64_e32 v[168:169], v[206:207], v[168:169]
	v_mul_f64_e32 v[206:207], s[20:21], v[82:83]
	v_add_f64_e32 v[172:173], v[176:177], v[172:173]
	s_delay_alu instid0(VALU_DEP_2) | instskip(SKIP_1) | instid1(VALU_DEP_2)
	v_fma_f64 v[208:209], v[72:73], s[44:45], v[206:207]
	v_fma_f64 v[176:177], v[72:73], s[22:23], v[206:207]
	v_add_f64_e32 v[170:171], v[208:209], v[170:171]
	v_mul_f64_e32 v[208:209], s[24:25], v[86:87]
	s_delay_alu instid0(VALU_DEP_3) | instskip(NEXT) | instid1(VALU_DEP_2)
	v_add_f64_e32 v[174:175], v[176:177], v[174:175]
	v_fma_f64 v[210:211], v[92:93], s[8:9], v[208:209]
	v_fma_f64 v[176:177], v[92:93], s[8:9], -v[208:209]
	s_delay_alu instid0(VALU_DEP_2) | instskip(SKIP_1) | instid1(VALU_DEP_3)
	v_add_f64_e32 v[168:169], v[210:211], v[168:169]
	v_mul_f64_e32 v[210:211], s[8:9], v[94:95]
	v_add_f64_e32 v[172:173], v[176:177], v[172:173]
	v_fma_f64 v[176:177], v[62:63], s[12:13], v[180:181]
	v_fma_f64 v[180:181], v[62:63], s[12:13], -v[180:181]
	s_delay_alu instid0(VALU_DEP_4) | instskip(SKIP_1) | instid1(VALU_DEP_4)
	v_fma_f64 v[178:179], v[84:85], s[24:25], v[210:211]
	v_fma_f64 v[212:213], v[84:85], s[42:43], v[210:211]
	v_add_f64_e32 v[176:177], v[176:177], v[196:197]
	s_delay_alu instid0(VALU_DEP_4)
	v_add_f64_e32 v[180:181], v[180:181], v[200:201]
	v_mul_f64_e32 v[200:201], s[22:23], v[126:127]
	v_add_f64_e32 v[174:175], v[178:179], v[174:175]
	v_fma_f64 v[178:179], v[68:69], s[52:53], v[182:183]
	v_add_f64_e32 v[176:177], v[186:187], v[176:177]
	v_mul_f64_e32 v[186:187], s[20:21], v[138:139]
	v_fma_f64 v[182:183], v[68:69], s[46:47], v[182:183]
	v_add_f64_e32 v[180:181], v[184:185], v[180:181]
	v_add_f64_e32 v[170:171], v[212:213], v[170:171]
	;; [unrolled: 1-line block ×3, first 2 shown]
	v_fma_f64 v[188:189], v[58:59], s[44:45], v[186:187]
	v_add_f64_e32 v[182:183], v[182:183], v[202:203]
	v_fma_f64 v[184:185], v[58:59], s[22:23], v[186:187]
	v_mul_f64_e32 v[202:203], s[20:21], v[116:117]
	s_delay_alu instid0(VALU_DEP_4) | instskip(SKIP_1) | instid1(VALU_DEP_4)
	v_add_f64_e32 v[178:179], v[188:189], v[178:179]
	v_mul_f64_e32 v[188:189], s[30:31], v[136:137]
	v_add_f64_e32 v[182:183], v[184:185], v[182:183]
	s_delay_alu instid0(VALU_DEP_2) | instskip(SKIP_3) | instid1(VALU_DEP_4)
	v_fma_f64 v[190:191], v[54:55], s[2:3], v[188:189]
	v_fma_f64 v[184:185], v[54:55], s[2:3], -v[188:189]
	v_mul_f64_e32 v[188:189], s[50:51], v[144:145]
	v_mul_f64_e32 v[144:145], s[44:45], v[144:145]
	v_add_f64_e32 v[176:177], v[190:191], v[176:177]
	v_mul_f64_e32 v[190:191], s[2:3], v[134:135]
	v_add_f64_e32 v[180:181], v[184:185], v[180:181]
	s_delay_alu instid0(VALU_DEP_2) | instskip(SKIP_3) | instid1(VALU_DEP_4)
	v_fma_f64 v[192:193], v[60:61], s[38:39], v[190:191]
	v_fma_f64 v[184:185], v[60:61], s[30:31], v[190:191]
	v_mul_f64_e32 v[190:191], s[16:17], v[142:143]
	v_mul_f64_e32 v[142:143], s[20:21], v[142:143]
	v_add_f64_e32 v[178:179], v[192:193], v[178:179]
	v_mul_f64_e32 v[192:193], s[34:35], v[126:127]
	v_add_f64_e32 v[182:183], v[184:185], v[182:183]
	v_mul_f64_e32 v[126:127], s[24:25], v[126:127]
	s_delay_alu instid0(VALU_DEP_3) | instskip(SKIP_3) | instid1(VALU_DEP_4)
	v_fma_f64 v[194:195], v[66:67], s[14:15], v[192:193]
	v_fma_f64 v[184:185], v[66:67], s[14:15], -v[192:193]
	v_mul_f64_e32 v[192:193], s[40:41], v[140:141]
	v_mul_f64_e32 v[140:141], s[30:31], v[140:141]
	v_add_f64_e32 v[176:177], v[194:195], v[176:177]
	v_mul_f64_e32 v[194:195], s[14:15], v[116:117]
	v_add_f64_e32 v[180:181], v[184:185], v[180:181]
	v_mul_f64_e32 v[116:117], s[8:9], v[116:117]
	s_delay_alu instid0(VALU_DEP_3) | instskip(SKIP_3) | instid1(VALU_DEP_4)
	v_fma_f64 v[196:197], v[52:53], s[40:41], v[194:195]
	v_fma_f64 v[184:185], v[52:53], s[34:35], v[194:195]
	v_mul_f64_e32 v[194:195], s[14:15], v[138:139]
	v_mul_f64_e32 v[138:139], s[2:3], v[138:139]
	v_add_f64_e32 v[178:179], v[196:197], v[178:179]
	v_mul_f64_e32 v[196:197], s[54:55], v[96:97]
	v_add_f64_e32 v[182:183], v[184:185], v[182:183]
	s_delay_alu instid0(VALU_DEP_2) | instskip(SKIP_3) | instid1(VALU_DEP_4)
	v_fma_f64 v[198:199], v[74:75], s[18:19], v[196:197]
	v_fma_f64 v[184:185], v[74:75], s[18:19], -v[196:197]
	v_mul_f64_e32 v[196:197], s[42:43], v[136:137]
	v_mul_f64_e32 v[136:137], s[36:37], v[136:137]
	v_add_f64_e32 v[176:177], v[198:199], v[176:177]
	v_mul_f64_e32 v[198:199], s[18:19], v[78:79]
	v_add_f64_e32 v[180:181], v[184:185], v[180:181]
	s_delay_alu instid0(VALU_DEP_2) | instskip(SKIP_3) | instid1(VALU_DEP_4)
	v_fma_f64 v[204:205], v[64:65], s[36:37], v[198:199]
	v_fma_f64 v[184:185], v[64:65], s[54:55], v[198:199]
	v_mul_f64_e32 v[198:199], s[8:9], v[134:135]
	v_mul_f64_e32 v[134:135], s[18:19], v[134:135]
	v_add_f64_e32 v[178:179], v[204:205], v[178:179]
	v_mul_f64_e32 v[204:205], s[26:27], v[90:91]
	v_add_f64_e32 v[182:183], v[184:185], v[182:183]
	s_delay_alu instid0(VALU_DEP_2) | instskip(SKIP_3) | instid1(VALU_DEP_4)
	v_fma_f64 v[206:207], v[80:81], s[0:1], v[204:205]
	v_fma_f64 v[184:185], v[80:81], s[0:1], -v[204:205]
	v_mul_f64_e32 v[204:205], s[26:27], v[96:97]
	v_mul_f64_e32 v[96:97], s[50:51], v[96:97]
	v_add_f64_e32 v[176:177], v[206:207], v[176:177]
	v_mul_f64_e32 v[206:207], s[0:1], v[82:83]
	v_add_f64_e32 v[180:181], v[184:185], v[180:181]
	s_delay_alu instid0(VALU_DEP_2) | instskip(SKIP_3) | instid1(VALU_DEP_4)
	v_fma_f64 v[208:209], v[72:73], s[48:49], v[206:207]
	v_fma_f64 v[184:185], v[72:73], s[26:27], v[206:207]
	v_mul_f64_e32 v[206:207], s[0:1], v[78:79]
	v_mul_f64_e32 v[78:79], s[16:17], v[78:79]
	v_add_f64_e32 v[178:179], v[208:209], v[178:179]
	v_mul_f64_e32 v[208:209], s[50:51], v[86:87]
	v_add_f64_e32 v[182:183], v[184:185], v[182:183]
	s_delay_alu instid0(VALU_DEP_2) | instskip(SKIP_3) | instid1(VALU_DEP_4)
	v_fma_f64 v[184:185], v[92:93], s[16:17], -v[208:209]
	v_fma_f64 v[210:211], v[92:93], s[16:17], v[208:209]
	v_mul_f64_e32 v[208:209], s[36:37], v[90:91]
	v_mul_f64_e32 v[90:91], s[52:53], v[90:91]
	v_add_f64_e32 v[180:181], v[184:185], v[180:181]
	v_fma_f64 v[184:185], v[62:63], s[16:17], v[188:189]
	v_add_f64_e32 v[176:177], v[210:211], v[176:177]
	v_mul_f64_e32 v[210:211], s[16:17], v[94:95]
	s_delay_alu instid0(VALU_DEP_3) | instskip(SKIP_1) | instid1(VALU_DEP_3)
	v_add_f64_e32 v[88:89], v[184:185], v[88:89]
	v_fma_f64 v[184:185], v[68:69], s[28:29], v[190:191]
	v_fma_f64 v[212:213], v[84:85], s[28:29], v[210:211]
	;; [unrolled: 1-line block ×3, first 2 shown]
	v_mul_f64_e32 v[210:211], s[18:19], v[82:83]
	v_mul_f64_e32 v[82:83], s[12:13], v[82:83]
	v_add_f64_e32 v[162:163], v[184:185], v[162:163]
	v_fma_f64 v[184:185], v[56:57], s[14:15], v[192:193]
	v_add_f64_e32 v[178:179], v[212:213], v[178:179]
	v_mul_f64_e32 v[212:213], s[52:53], v[86:87]
	v_add_f64_e32 v[182:183], v[186:187], v[182:183]
	s_delay_alu instid0(VALU_DEP_4) | instskip(SKIP_1) | instid1(VALU_DEP_1)
	v_add_f64_e32 v[88:89], v[184:185], v[88:89]
	v_fma_f64 v[184:185], v[58:59], s[34:35], v[194:195]
	v_add_f64_e32 v[162:163], v[184:185], v[162:163]
	v_fma_f64 v[184:185], v[54:55], s[8:9], v[196:197]
	s_delay_alu instid0(VALU_DEP_1) | instskip(SKIP_1) | instid1(VALU_DEP_1)
	v_add_f64_e32 v[88:89], v[184:185], v[88:89]
	v_fma_f64 v[184:185], v[60:61], s[24:25], v[198:199]
	v_add_f64_e32 v[162:163], v[184:185], v[162:163]
	v_fma_f64 v[184:185], v[66:67], s[20:21], v[200:201]
	s_delay_alu instid0(VALU_DEP_1) | instskip(SKIP_1) | instid1(VALU_DEP_1)
	;; [unrolled: 5-line block ×4, first 2 shown]
	v_add_f64_e32 v[88:89], v[184:185], v[88:89]
	v_fma_f64 v[184:185], v[72:73], s[54:55], v[210:211]
	v_add_f64_e32 v[162:163], v[184:185], v[162:163]
	v_fma_f64 v[184:185], v[92:93], s[12:13], v[212:213]
	s_delay_alu instid0(VALU_DEP_1) | instskip(SKIP_2) | instid1(VALU_DEP_2)
	v_add_f64_e32 v[184:185], v[184:185], v[88:89]
	v_mul_f64_e32 v[88:89], s[12:13], v[94:95]
	v_mul_f64_e32 v[94:95], s[14:15], v[94:95]
	v_fma_f64 v[186:187], v[84:85], s[46:47], v[88:89]
	v_fma_f64 v[88:89], v[84:85], s[52:53], v[88:89]
	s_delay_alu instid0(VALU_DEP_2) | instskip(SKIP_1) | instid1(VALU_DEP_1)
	v_add_f64_e32 v[186:187], v[186:187], v[162:163]
	v_fma_f64 v[162:163], v[62:63], s[16:17], -v[188:189]
	v_add_f64_e32 v[160:161], v[162:163], v[160:161]
	v_fma_f64 v[162:163], v[68:69], s[50:51], v[190:191]
	s_delay_alu instid0(VALU_DEP_1) | instskip(SKIP_1) | instid1(VALU_DEP_1)
	v_add_f64_e32 v[158:159], v[162:163], v[158:159]
	v_fma_f64 v[162:163], v[56:57], s[14:15], -v[192:193]
	v_add_f64_e32 v[160:161], v[162:163], v[160:161]
	v_fma_f64 v[162:163], v[58:59], s[40:41], v[194:195]
	s_delay_alu instid0(VALU_DEP_1) | instskip(SKIP_1) | instid1(VALU_DEP_1)
	;; [unrolled: 5-line block ×6, first 2 shown]
	v_add_f64_e32 v[162:163], v[162:163], v[158:159]
	v_fma_f64 v[158:159], v[92:93], s[12:13], -v[212:213]
	v_add_f64_e32 v[158:159], v[158:159], v[160:161]
	s_delay_alu instid0(VALU_DEP_3) | instskip(SKIP_3) | instid1(VALU_DEP_3)
	v_add_f64_e32 v[160:161], v[88:89], v[162:163]
	v_fma_f64 v[88:89], v[62:63], s[20:21], v[144:145]
	v_fma_f64 v[144:145], v[62:63], s[20:21], -v[144:145]
	v_fma_f64 v[62:63], v[62:63], s[18:19], -v[98:99]
	v_add_f64_e32 v[88:89], v[88:89], v[156:157]
	v_fma_f64 v[156:157], v[68:69], s[22:23], v[142:143]
	v_fma_f64 v[142:143], v[68:69], s[44:45], v[142:143]
	;; [unrolled: 1-line block ×3, first 2 shown]
	v_add_f64_e32 v[144:145], v[144:145], v[152:153]
	v_add_f64_e32 v[62:63], v[62:63], v[70:71]
	;; [unrolled: 1-line block ×3, first 2 shown]
	v_fma_f64 v[156:157], v[56:57], s[2:3], v[140:141]
	v_add_f64_e32 v[142:143], v[142:143], v[150:151]
	v_fma_f64 v[140:141], v[56:57], s[2:3], -v[140:141]
	v_add_f64_e32 v[68:69], v[68:69], v[76:77]
	v_fma_f64 v[56:57], v[56:57], s[16:17], -v[102:103]
	v_add_f64_e32 v[88:89], v[156:157], v[88:89]
	v_fma_f64 v[156:157], v[58:59], s[38:39], v[138:139]
	v_fma_f64 v[138:139], v[58:59], s[30:31], v[138:139]
	;; [unrolled: 1-line block ×3, first 2 shown]
	v_add_f64_e32 v[140:141], v[140:141], v[144:145]
	v_add_f64_e32 v[56:57], v[56:57], v[62:63]
	v_add_nc_u32_e32 v105, 0x110, v167
	v_add_nc_u32_e32 v104, 0x220, v167
	v_add_f64_e32 v[154:155], v[156:157], v[154:155]
	v_fma_f64 v[156:157], v[54:55], s[18:19], v[136:137]
	v_add_f64_e32 v[138:139], v[138:139], v[142:143]
	v_fma_f64 v[136:137], v[54:55], s[18:19], -v[136:137]
	v_add_f64_e32 v[58:59], v[58:59], v[68:69]
	v_fma_f64 v[54:55], v[54:55], s[14:15], -v[106:107]
	v_add_f64_e32 v[88:89], v[156:157], v[88:89]
	v_fma_f64 v[156:157], v[60:61], s[54:55], v[134:135]
	v_fma_f64 v[134:135], v[60:61], s[36:37], v[134:135]
	;; [unrolled: 1-line block ×3, first 2 shown]
	v_add_f64_e32 v[136:137], v[136:137], v[140:141]
	v_add_f64_e32 v[54:55], v[54:55], v[56:57]
	;; [unrolled: 1-line block ×3, first 2 shown]
	v_fma_f64 v[156:157], v[66:67], s[8:9], v[126:127]
	v_add_f64_e32 v[134:135], v[134:135], v[138:139]
	v_fma_f64 v[126:127], v[66:67], s[8:9], -v[126:127]
	v_add_f64_e32 v[56:57], v[60:61], v[58:59]
	v_fma_f64 v[58:59], v[66:67], s[12:13], -v[120:121]
	v_add_f64_e32 v[88:89], v[156:157], v[88:89]
	v_fma_f64 v[156:157], v[52:53], s[42:43], v[116:117]
	v_fma_f64 v[116:117], v[52:53], s[24:25], v[116:117]
	v_fma_f64 v[52:53], v[52:53], s[52:53], v[122:123]
	v_add_f64_e32 v[126:127], v[126:127], v[136:137]
	v_add_f64_e32 v[54:55], v[58:59], v[54:55]
	v_fma_f64 v[58:59], v[64:65], s[24:25], v[128:129]
	v_add_f64_e32 v[154:155], v[156:157], v[154:155]
	v_fma_f64 v[156:157], v[74:75], s[16:17], v[96:97]
	v_add_f64_e32 v[116:117], v[116:117], v[134:135]
	v_fma_f64 v[96:97], v[74:75], s[16:17], -v[96:97]
	v_add_f64_e32 v[52:53], v[52:53], v[56:57]
	v_fma_f64 v[56:57], v[74:75], s[8:9], -v[124:125]
	v_add_f64_e32 v[88:89], v[156:157], v[88:89]
	v_fma_f64 v[156:157], v[64:65], s[28:29], v[78:79]
	v_fma_f64 v[78:79], v[64:65], s[50:51], v[78:79]
	v_add_f64_e32 v[96:97], v[96:97], v[126:127]
	v_add_f64_e32 v[54:55], v[56:57], v[54:55]
	;; [unrolled: 1-line block ×3, first 2 shown]
	v_fma_f64 v[56:57], v[80:81], s[2:3], -v[130:131]
	v_fma_f64 v[58:59], v[72:73], s[30:31], v[132:133]
	v_add_f64_e32 v[154:155], v[156:157], v[154:155]
	v_fma_f64 v[156:157], v[80:81], s[12:13], v[90:91]
	v_add_f64_e32 v[78:79], v[78:79], v[116:117]
	v_fma_f64 v[90:91], v[80:81], s[12:13], -v[90:91]
	v_add_f64_e32 v[54:55], v[56:57], v[54:55]
	v_add_f64_e32 v[56:57], v[58:59], v[52:53]
	v_fma_f64 v[52:53], v[92:93], s[0:1], -v[146:147]
	v_fma_f64 v[58:59], v[84:85], s[26:27], v[148:149]
	v_add_f64_e32 v[88:89], v[156:157], v[88:89]
	v_fma_f64 v[156:157], v[72:73], s[46:47], v[82:83]
	v_fma_f64 v[82:83], v[72:73], s[52:53], v[82:83]
	v_add_f64_e32 v[90:91], v[90:91], v[96:97]
	v_fma_f64 v[96:97], v[84:85], s[34:35], v[94:95]
	v_add_f64_e32 v[52:53], v[52:53], v[54:55]
	v_add_f64_e32 v[54:55], v[58:59], v[56:57]
	;; [unrolled: 1-line block ×3, first 2 shown]
	v_mul_f64_e32 v[156:157], s[34:35], v[86:87]
	v_add_f64_e32 v[78:79], v[82:83], v[78:79]
	s_delay_alu instid0(VALU_DEP_2) | instskip(SKIP_1) | instid1(VALU_DEP_3)
	v_fma_f64 v[86:87], v[92:93], s[14:15], v[156:157]
	v_fma_f64 v[82:83], v[92:93], s[14:15], -v[156:157]
	v_add_f64_e32 v[96:97], v[96:97], v[78:79]
	s_delay_alu instid0(VALU_DEP_3) | instskip(SKIP_1) | instid1(VALU_DEP_4)
	v_add_f64_e32 v[86:87], v[86:87], v[88:89]
	v_fma_f64 v[88:89], v[84:85], s[40:41], v[94:95]
	v_add_f64_e32 v[94:95], v[82:83], v[90:91]
	s_delay_alu instid0(VALU_DEP_2)
	v_add_f64_e32 v[88:89], v[88:89], v[154:155]
	ds_store_b128 v165, v[40:43] offset:48
	ds_store_b128 v165, v[48:51] offset:64
	;; [unrolled: 1-line block ×14, first 2 shown]
	s_and_saveexec_b32 s33, vcc_lo
	s_cbranch_execz .LBB0_13
; %bb.12:
	s_clause 0x3
	scratch_load_b128 v[36:39], off, off offset:60 th:TH_LOAD_LU
	scratch_load_b128 v[44:47], off, off offset:76 th:TH_LOAD_LU
	;; [unrolled: 1-line block ×4, first 2 shown]
	v_add_f64_e32 v[20:21], v[2:3], v[10:11]
	v_add_f64_e32 v[22:23], v[0:1], v[8:9]
	s_clause 0x1
	scratch_load_b128 v[52:55], off, off offset:28 th:TH_LOAD_LU
	scratch_load_b128 v[64:67], off, off offset:12 th:TH_LOAD_LU
	v_add_f64_e64 v[100:101], v[12:13], -v[219:220]
	v_add_f64_e64 v[72:73], v[14:15], -v[221:222]
	v_add_f64_e32 v[68:69], v[2:3], v[216:217]
	v_add_f64_e32 v[70:71], v[0:1], v[214:215]
	;; [unrolled: 1-line block ×4, first 2 shown]
	v_mul_f64_e32 v[152:153], s[54:55], v[100:101]
	v_mul_f64_e32 v[201:202], s[40:41], v[100:101]
	;; [unrolled: 1-line block ×3, first 2 shown]
	v_add_f64_e32 v[20:21], v[6:7], v[20:21]
	v_add_f64_e32 v[22:23], v[4:5], v[22:23]
	s_delay_alu instid0(VALU_DEP_2) | instskip(NEXT) | instid1(VALU_DEP_2)
	v_add_f64_e32 v[20:21], v[250:251], v[20:21]
	v_add_f64_e32 v[22:23], v[248:249], v[22:23]
	s_delay_alu instid0(VALU_DEP_2) | instskip(NEXT) | instid1(VALU_DEP_2)
	;; [unrolled: 3-line block ×3, first 2 shown]
	v_add_f64_e32 v[20:21], v[254:255], v[20:21]
	v_add_f64_e32 v[22:23], v[252:253], v[22:23]
	s_wait_loadcnt 0x5
	s_delay_alu instid0(VALU_DEP_2) | instskip(NEXT) | instid1(VALU_DEP_2)
	v_add_f64_e32 v[20:21], v[38:39], v[20:21]
	v_add_f64_e32 v[22:23], v[36:37], v[22:23]
	s_wait_loadcnt 0x2
	v_add_f64_e64 v[32:33], v[28:29], -v[40:41]
	v_add_f64_e64 v[34:35], v[30:31], -v[42:43]
	v_add_f64_e32 v[74:75], v[28:29], v[40:41]
	s_wait_loadcnt 0x1
	v_add_f64_e64 v[58:59], v[16:17], -v[52:53]
	v_add_f64_e64 v[56:57], v[18:19], -v[54:55]
	v_add_f64_e32 v[18:19], v[54:55], v[18:19]
	v_add_f64_e32 v[16:17], v[52:53], v[16:17]
	s_wait_loadcnt 0x0
	v_add_f64_e64 v[62:63], v[248:249], -v[64:65]
	v_add_f64_e64 v[60:61], v[250:251], -v[66:67]
	v_add_f64_e32 v[24:25], v[30:31], v[20:21]
	v_add_f64_e32 v[26:27], v[28:29], v[22:23]
	;; [unrolled: 1-line block ×3, first 2 shown]
	v_mul_f64_e32 v[160:161], s[34:35], v[32:33]
	v_mul_f64_e32 v[162:163], s[34:35], v[34:35]
	;; [unrolled: 1-line block ×13, first 2 shown]
	v_add_f64_e32 v[28:29], v[42:43], v[24:25]
	v_add_f64_e32 v[30:31], v[40:41], v[26:27]
	v_add_f64_e64 v[42:43], v[36:37], -v[44:45]
	v_add_f64_e64 v[40:41], v[38:39], -v[46:47]
	v_add_f64_e32 v[26:27], v[38:39], v[46:47]
	v_add_f64_e32 v[24:25], v[36:37], v[44:45]
	;; [unrolled: 1-line block ×4, first 2 shown]
	scratch_load_b128 v[44:47], off, off offset:44 th:TH_LOAD_LU ; 16-byte Folded Reload
	v_mul_f64_e32 v[167:168], s[26:27], v[40:41]
	v_mul_f64_e32 v[193:194], s[30:31], v[42:43]
	;; [unrolled: 1-line block ×3, first 2 shown]
	s_wait_loadcnt 0x0
	v_add_f64_e32 v[36:37], v[46:47], v[36:37]
	v_add_f64_e32 v[38:39], v[44:45], v[38:39]
	v_add_f64_e64 v[50:51], v[252:253], -v[44:45]
	v_add_f64_e64 v[48:49], v[254:255], -v[46:47]
	v_add_f64_e32 v[30:31], v[254:255], v[46:47]
	v_add_f64_e32 v[28:29], v[252:253], v[44:45]
	v_mul_f64_e32 v[252:253], s[50:51], v[42:43]
	v_mul_f64_e32 v[254:255], s[50:51], v[40:41]
	v_add_f64_e32 v[44:45], v[54:55], v[36:37]
	v_add_f64_e32 v[46:47], v[52:53], v[38:39]
	;; [unrolled: 1-line block ×4, first 2 shown]
	v_mul_f64_e32 v[189:190], s[24:25], v[50:51]
	v_mul_f64_e32 v[191:192], s[24:25], v[48:49]
	;; [unrolled: 1-line block ×4, first 2 shown]
	v_add_f64_e32 v[52:53], v[66:67], v[44:45]
	v_add_f64_e32 v[54:55], v[64:65], v[46:47]
	v_add_f64_e64 v[66:67], v[4:5], -v[223:224]
	v_add_f64_e64 v[64:65], v[6:7], -v[225:226]
	v_add_f64_e32 v[46:47], v[225:226], v[6:7]
	v_add_f64_e32 v[44:45], v[223:224], v[4:5]
	;; [unrolled: 1-line block ×5, first 2 shown]
	v_add_f64_e64 v[12:13], v[0:1], -v[214:215]
	v_add_f64_e32 v[52:53], v[221:222], v[14:15]
	v_add_f64_e64 v[14:15], v[2:3], -v[216:217]
	v_mul_f64_e32 v[205:206], s[24:25], v[64:65]
	v_mul_f64_e32 v[224:225], s[46:47], v[60:61]
	;; [unrolled: 1-line block ×4, first 2 shown]
	v_add_f64_e32 v[4:5], v[221:222], v[4:5]
	v_add_f64_e32 v[6:7], v[219:220], v[6:7]
	v_mul_f64_e32 v[220:221], s[48:49], v[64:65]
	v_mul_f64_e32 v[76:77], s[24:25], v[12:13]
	;; [unrolled: 1-line block ×12, first 2 shown]
	v_add_f64_e32 v[2:3], v[216:217], v[4:5]
	v_add_f64_e32 v[0:1], v[214:215], v[6:7]
	v_mul_f64_e32 v[4:5], s[26:27], v[12:13]
	v_fma_f64 v[90:91], v[68:69], s[8:9], v[76:77]
	v_fma_f64 v[76:77], v[68:69], s[8:9], -v[76:77]
	v_fma_f64 v[96:97], v[68:69], s[16:17], -v[82:83]
	v_fma_f64 v[82:83], v[68:69], s[16:17], v[82:83]
	v_fma_f64 v[128:129], v[70:71], s[8:9], -v[106:107]
	v_fma_f64 v[106:107], v[70:71], s[8:9], v[106:107]
	v_fma_f64 v[92:93], v[68:69], s[12:13], v[78:79]
	;; [unrolled: 1-line block ×3, first 2 shown]
	v_fma_f64 v[120:121], v[70:71], s[16:17], -v[120:121]
	v_fma_f64 v[98:99], v[68:69], s[18:19], -v[84:85]
	v_fma_f64 v[84:85], v[68:69], s[18:19], v[84:85]
	v_fma_f64 v[130:131], v[70:71], s[12:13], -v[116:117]
	v_mul_f64_e32 v[6:7], s[30:31], v[12:13]
	v_mul_f64_e32 v[12:13], s[22:23], v[12:13]
	v_fma_f64 v[94:95], v[68:69], s[14:15], v[80:81]
	v_fma_f64 v[136:137], v[70:71], s[18:19], v[122:123]
	v_fma_f64 v[122:123], v[70:71], s[18:19], -v[122:123]
	v_fma_f64 v[78:79], v[68:69], s[12:13], -v[78:79]
	;; [unrolled: 1-line block ×4, first 2 shown]
	v_fma_f64 v[116:117], v[70:71], s[12:13], v[116:117]
	v_fma_f64 v[118:119], v[70:71], s[14:15], v[118:119]
	v_mul_f64_e32 v[213:214], s[38:39], v[56:57]
	v_mov_b32_e32 v217, v166
	v_mul_f64_e32 v[165:166], s[44:45], v[32:33]
	v_mul_f64_e32 v[215:216], s[24:25], v[100:101]
	s_clause 0x2
	scratch_store_b128 off, v[0:3], off offset:44
	scratch_store_b32 off, v104, off offset:12
	scratch_store_b32 off, v105, off offset:28
	v_fma_f64 v[86:87], v[68:69], s[0:1], v[4:5]
	v_add_f64_e32 v[0:1], v[76:77], v[10:11]
	v_fma_f64 v[4:5], v[68:69], s[0:1], -v[4:5]
	v_add_f64_e32 v[2:3], v[82:83], v[10:11]
	v_mul_f64_e32 v[104:105], s[30:31], v[14:15]
	v_add_f64_e32 v[128:129], v[128:129], v[8:9]
	v_add_f64_e32 v[90:91], v[90:91], v[10:11]
	;; [unrolled: 1-line block ×3, first 2 shown]
	v_fma_f64 v[88:89], v[68:69], s[2:3], v[6:7]
	v_fma_f64 v[6:7], v[68:69], s[2:3], -v[6:7]
	v_fma_f64 v[102:103], v[68:69], s[20:21], -v[12:13]
	v_fma_f64 v[12:13], v[68:69], s[20:21], v[12:13]
	v_mul_f64_e32 v[68:69], s[26:27], v[14:15]
	v_mul_f64_e32 v[14:15], s[22:23], v[14:15]
	v_add_f64_e32 v[150:151], v[78:79], v[10:11]
	v_add_f64_e32 v[154:155], v[80:81], v[10:11]
	;; [unrolled: 1-line block ×5, first 2 shown]
	scratch_store_b64 off, v[0:1], off offset:996 ; 8-byte Folded Spill
	v_add_f64_e32 v[0:1], v[106:107], v[8:9]
	v_mov_b32_e32 v106, v218
	v_fma_f64 v[126:127], v[70:71], s[2:3], -v[104:105]
	v_fma_f64 v[104:105], v[70:71], s[2:3], v[104:105]
	v_add_f64_e32 v[140:141], v[4:5], v[10:11]
	v_mul_f64_e32 v[218:219], s[24:25], v[72:73]
	v_mul_f64_e32 v[107:108], s[28:29], v[58:59]
	scratch_store_b64 off, v[2:3], off offset:948 ; 8-byte Folded Spill
	v_add_f64_e32 v[2:3], v[120:121], v[8:9]
	v_mul_f64_e32 v[120:121], s[24:25], v[66:67]
	v_add_f64_e32 v[88:89], v[88:89], v[10:11]
	v_add_f64_e32 v[144:145], v[6:7], v[10:11]
	v_fma_f64 v[124:125], v[70:71], s[0:1], -v[68:69]
	v_fma_f64 v[68:69], v[70:71], s[0:1], v[68:69]
	v_fma_f64 v[138:139], v[70:71], s[20:21], v[14:15]
	v_fma_f64 v[14:15], v[70:71], s[20:21], -v[14:15]
	v_mul_f64_e32 v[70:71], s[46:47], v[72:73]
	scratch_store_b64 off, v[0:1], off offset:988 ; 8-byte Folded Spill
	v_add_f64_e32 v[0:1], v[92:93], v[10:11]
	v_add_f64_e32 v[126:127], v[126:127], v[8:9]
	;; [unrolled: 1-line block ×5, first 2 shown]
	v_mul_f64_e32 v[102:103], s[22:23], v[66:67]
	scratch_store_b64 off, v[2:3], off offset:940 ; 8-byte Folded Spill
	v_add_f64_e32 v[2:3], v[84:85], v[10:11]
	v_add_f64_e32 v[124:125], v[124:125], v[8:9]
	v_add_f64_e32 v[142:143], v[68:69], v[8:9]
	scratch_store_b64 off, v[0:1], off offset:980 ; 8-byte Folded Spill
	v_add_f64_e32 v[0:1], v[130:131], v[8:9]
	v_mul_f64_e32 v[130:131], s[28:29], v[66:67]
	scratch_store_b64 off, v[2:3], off offset:916 ; 8-byte Folded Spill
	v_add_f64_e32 v[2:3], v[122:123], v[8:9]
	v_mul_f64_e32 v[122:123], s[26:27], v[100:101]
	scratch_store_b64 off, v[0:1], off offset:972 ; 8-byte Folded Spill
	v_add_f64_e32 v[0:1], v[94:95], v[10:11]
	v_add_f64_e32 v[94:95], v[98:99], v[10:11]
	;; [unrolled: 1-line block ×3, first 2 shown]
	v_mul_f64_e32 v[138:139], s[30:31], v[32:33]
	scratch_store_b64 off, v[2:3], off offset:908 ; 8-byte Folded Spill
	v_add_f64_e32 v[2:3], v[12:13], v[10:11]
	v_mul_f64_e32 v[12:13], s[30:31], v[66:67]
	v_mul_f64_e32 v[10:11], s[44:45], v[72:73]
	scratch_store_b64 off, v[0:1], off offset:964 ; 8-byte Folded Spill
	v_add_f64_e32 v[0:1], v[132:133], v[8:9]
	v_mul_f64_e32 v[132:133], s[40:41], v[42:43]
	scratch_store_b64 off, v[2:3], off offset:108 ; 8-byte Folded Spill
	v_add_f64_e32 v[2:3], v[14:15], v[8:9]
	v_fma_f64 v[14:15], v[46:47], s[2:3], v[12:13]
	v_fma_f64 v[6:7], v[54:55], s[20:21], -v[10:11]
	v_fma_f64 v[10:11], v[54:55], s[20:21], v[10:11]
	v_fma_f64 v[12:13], v[46:47], s[2:3], -v[12:13]
	scratch_store_b64 off, v[0:1], off offset:956 ; 8-byte Folded Spill
	v_add_f64_e32 v[0:1], v[136:137], v[8:9]
	v_mul_f64_e32 v[8:9], s[44:45], v[100:101]
	v_mul_f64_e32 v[136:137], s[54:55], v[72:73]
	v_add_f64_e32 v[6:7], v[124:125], v[6:7]
	v_add_f64_e32 v[10:11], v[142:143], v[10:11]
	s_delay_alu instid0(VALU_DEP_4) | instskip(SKIP_1) | instid1(VALU_DEP_2)
	v_fma_f64 v[4:5], v[52:53], s[20:21], v[8:9]
	v_fma_f64 v[8:9], v[52:53], s[20:21], -v[8:9]
	v_add_f64_e32 v[4:5], v[4:5], v[86:87]
	s_delay_alu instid0(VALU_DEP_2) | instskip(NEXT) | instid1(VALU_DEP_2)
	v_add_f64_e32 v[8:9], v[8:9], v[140:141]
	v_add_f64_e32 v[4:5], v[14:15], v[4:5]
	v_mul_f64_e32 v[14:15], s[30:31], v[64:65]
	s_delay_alu instid0(VALU_DEP_3) | instskip(NEXT) | instid1(VALU_DEP_2)
	v_add_f64_e32 v[8:9], v[12:13], v[8:9]
	v_fma_f64 v[76:77], v[44:45], s[2:3], -v[14:15]
	v_fma_f64 v[12:13], v[44:45], s[2:3], v[14:15]
	v_fma_f64 v[14:15], v[74:75], s[14:15], v[162:163]
	s_delay_alu instid0(VALU_DEP_3) | instskip(SKIP_1) | instid1(VALU_DEP_4)
	v_add_f64_e32 v[6:7], v[76:77], v[6:7]
	v_mul_f64_e32 v[76:77], s[36:37], v[62:63]
	v_add_f64_e32 v[10:11], v[12:13], v[10:11]
	s_delay_alu instid0(VALU_DEP_2) | instskip(SKIP_2) | instid1(VALU_DEP_3)
	v_fma_f64 v[78:79], v[38:39], s[18:19], v[76:77]
	v_fma_f64 v[12:13], v[38:39], s[18:19], -v[76:77]
	v_mul_f64_e32 v[76:77], s[50:51], v[100:101]
	v_add_f64_e32 v[4:5], v[78:79], v[4:5]
	v_mul_f64_e32 v[78:79], s[36:37], v[60:61]
	s_delay_alu instid0(VALU_DEP_4) | instskip(NEXT) | instid1(VALU_DEP_2)
	v_add_f64_e32 v[8:9], v[12:13], v[8:9]
	v_fma_f64 v[80:81], v[36:37], s[18:19], -v[78:79]
	v_fma_f64 v[12:13], v[36:37], s[18:19], v[78:79]
	v_mul_f64_e32 v[78:79], s[50:51], v[72:73]
	s_delay_alu instid0(VALU_DEP_3) | instskip(SKIP_1) | instid1(VALU_DEP_4)
	v_add_f64_e32 v[6:7], v[80:81], v[6:7]
	v_mul_f64_e32 v[80:81], s[24:25], v[58:59]
	v_add_f64_e32 v[10:11], v[12:13], v[10:11]
	s_delay_alu instid0(VALU_DEP_2) | instskip(SKIP_2) | instid1(VALU_DEP_3)
	v_fma_f64 v[82:83], v[18:19], s[8:9], v[80:81]
	v_fma_f64 v[12:13], v[18:19], s[8:9], -v[80:81]
	v_mul_f64_e32 v[80:81], s[40:41], v[66:67]
	v_add_f64_e32 v[4:5], v[82:83], v[4:5]
	v_mul_f64_e32 v[82:83], s[24:25], v[56:57]
	s_delay_alu instid0(VALU_DEP_4) | instskip(NEXT) | instid1(VALU_DEP_2)
	v_add_f64_e32 v[8:9], v[12:13], v[8:9]
	v_fma_f64 v[84:85], v[16:17], s[8:9], -v[82:83]
	v_fma_f64 v[12:13], v[16:17], s[8:9], v[82:83]
	v_fma_f64 v[82:83], v[46:47], s[14:15], v[80:81]
	v_fma_f64 v[80:81], v[46:47], s[14:15], -v[80:81]
	s_delay_alu instid0(VALU_DEP_4) | instskip(SKIP_2) | instid1(VALU_DEP_2)
	v_add_f64_e32 v[6:7], v[84:85], v[6:7]
	v_mul_f64_e32 v[84:85], s[50:51], v[50:51]
	v_add_f64_e32 v[10:11], v[12:13], v[10:11]
	v_fma_f64 v[86:87], v[30:31], s[16:17], v[84:85]
	v_fma_f64 v[12:13], v[30:31], s[16:17], -v[84:85]
	s_delay_alu instid0(VALU_DEP_2) | instskip(SKIP_1) | instid1(VALU_DEP_3)
	v_add_f64_e32 v[4:5], v[86:87], v[4:5]
	v_mul_f64_e32 v[86:87], s[50:51], v[48:49]
	v_add_f64_e32 v[8:9], v[12:13], v[8:9]
	s_delay_alu instid0(VALU_DEP_2) | instskip(SKIP_1) | instid1(VALU_DEP_2)
	v_fma_f64 v[124:125], v[28:29], s[16:17], -v[86:87]
	v_fma_f64 v[12:13], v[28:29], s[16:17], v[86:87]
	v_add_f64_e32 v[6:7], v[124:125], v[6:7]
	v_mul_f64_e32 v[124:125], s[52:53], v[42:43]
	s_delay_alu instid0(VALU_DEP_3) | instskip(NEXT) | instid1(VALU_DEP_2)
	v_add_f64_e32 v[10:11], v[12:13], v[10:11]
	v_fma_f64 v[156:157], v[26:27], s[12:13], v[124:125]
	v_fma_f64 v[12:13], v[26:27], s[12:13], -v[124:125]
	s_delay_alu instid0(VALU_DEP_2) | instskip(SKIP_1) | instid1(VALU_DEP_3)
	v_add_f64_e32 v[4:5], v[156:157], v[4:5]
	v_mul_f64_e32 v[156:157], s[52:53], v[40:41]
	v_add_f64_e32 v[8:9], v[12:13], v[8:9]
	s_delay_alu instid0(VALU_DEP_2) | instskip(SKIP_1) | instid1(VALU_DEP_2)
	v_fma_f64 v[158:159], v[24:25], s[12:13], -v[156:157]
	v_fma_f64 v[12:13], v[24:25], s[12:13], v[156:157]
	v_add_f64_e32 v[158:159], v[158:159], v[6:7]
	v_fma_f64 v[6:7], v[22:23], s[14:15], v[160:161]
	s_delay_alu instid0(VALU_DEP_3) | instskip(SKIP_2) | instid1(VALU_DEP_4)
	v_add_f64_e32 v[12:13], v[12:13], v[10:11]
	v_fma_f64 v[10:11], v[22:23], s[14:15], -v[160:161]
	v_mul_f64_e32 v[160:161], s[52:53], v[32:33]
	v_add_f64_e32 v[6:7], v[6:7], v[4:5]
	v_fma_f64 v[4:5], v[74:75], s[14:15], -v[162:163]
	v_mul_f64_e32 v[162:163], s[52:53], v[34:35]
	s_delay_alu instid0(VALU_DEP_2)
	v_add_f64_e32 v[4:5], v[4:5], v[158:159]
	scratch_store_b64 off, v[2:3], off offset:76 ; 8-byte Folded Spill
	v_add_f64_e32 v[2:3], v[14:15], v[12:13]
	v_fma_f64 v[12:13], v[52:53], s[16:17], v[76:77]
	v_fma_f64 v[14:15], v[54:55], s[16:17], -v[78:79]
	v_fma_f64 v[76:77], v[52:53], s[16:17], -v[76:77]
	v_fma_f64 v[78:79], v[54:55], s[16:17], v[78:79]
	scratch_store_b128 off, v[4:7], off offset:60 ; 16-byte Folded Spill
	v_add_f64_e32 v[4:5], v[10:11], v[8:9]
	v_mul_f64_e32 v[8:9], s[44:45], v[60:61]
	v_add_f64_e32 v[12:13], v[12:13], v[88:89]
	v_add_f64_e32 v[14:15], v[126:127], v[14:15]
	v_add_f64_e32 v[76:77], v[76:77], v[144:145]
	v_add_f64_e32 v[78:79], v[104:105], v[78:79]
	v_mul_f64_e32 v[104:105], s[46:47], v[100:101]
	v_mul_f64_e32 v[144:145], s[34:35], v[58:59]
	scratch_store_b128 off, v[2:5], off offset:92 ; 16-byte Folded Spill
	v_add_f64_e32 v[12:13], v[82:83], v[12:13]
	v_mul_f64_e32 v[82:83], s[40:41], v[64:65]
	v_add_f64_e32 v[76:77], v[80:81], v[76:77]
	s_delay_alu instid0(VALU_DEP_2) | instskip(SKIP_2) | instid1(VALU_DEP_3)
	v_fma_f64 v[84:85], v[44:45], s[14:15], -v[82:83]
	v_fma_f64 v[80:81], v[44:45], s[14:15], v[82:83]
	v_fma_f64 v[82:83], v[74:75], s[12:13], v[162:163]
	v_add_f64_e32 v[14:15], v[84:85], v[14:15]
	v_mul_f64_e32 v[84:85], s[42:43], v[62:63]
	s_delay_alu instid0(VALU_DEP_4) | instskip(NEXT) | instid1(VALU_DEP_2)
	v_add_f64_e32 v[78:79], v[80:81], v[78:79]
	v_fma_f64 v[86:87], v[38:39], s[8:9], v[84:85]
	v_fma_f64 v[80:81], v[38:39], s[8:9], -v[84:85]
	v_fma_f64 v[84:85], v[46:47], s[20:21], v[102:103]
	s_delay_alu instid0(VALU_DEP_3) | instskip(SKIP_1) | instid1(VALU_DEP_4)
	v_add_f64_e32 v[12:13], v[86:87], v[12:13]
	v_mul_f64_e32 v[86:87], s[42:43], v[60:61]
	v_add_f64_e32 v[76:77], v[80:81], v[76:77]
	s_delay_alu instid0(VALU_DEP_2) | instskip(SKIP_2) | instid1(VALU_DEP_3)
	v_fma_f64 v[88:89], v[36:37], s[8:9], -v[86:87]
	v_fma_f64 v[80:81], v[36:37], s[8:9], v[86:87]
	v_fma_f64 v[86:87], v[54:55], s[18:19], v[136:137]
	v_add_f64_e32 v[14:15], v[88:89], v[14:15]
	v_mul_f64_e32 v[88:89], s[22:23], v[58:59]
	s_delay_alu instid0(VALU_DEP_4) | instskip(NEXT) | instid1(VALU_DEP_4)
	v_add_f64_e32 v[78:79], v[80:81], v[78:79]
	v_add_f64_e32 v[86:87], v[98:99], v[86:87]
	v_mul_f64_e32 v[58:59], s[26:27], v[58:59]
	s_delay_alu instid0(VALU_DEP_4) | instskip(SKIP_2) | instid1(VALU_DEP_3)
	v_fma_f64 v[124:125], v[18:19], s[20:21], v[88:89]
	v_fma_f64 v[80:81], v[18:19], s[20:21], -v[88:89]
	v_fma_f64 v[88:89], v[46:47], s[16:17], -v[130:131]
	v_add_f64_e32 v[12:13], v[124:125], v[12:13]
	v_mul_f64_e32 v[124:125], s[22:23], v[56:57]
	s_delay_alu instid0(VALU_DEP_4) | instskip(NEXT) | instid1(VALU_DEP_2)
	v_add_f64_e32 v[76:77], v[80:81], v[76:77]
	v_fma_f64 v[126:127], v[16:17], s[20:21], -v[124:125]
	v_fma_f64 v[80:81], v[16:17], s[20:21], v[124:125]
	s_delay_alu instid0(VALU_DEP_2) | instskip(SKIP_1) | instid1(VALU_DEP_3)
	v_add_f64_e32 v[14:15], v[126:127], v[14:15]
	v_mul_f64_e32 v[126:127], s[26:27], v[50:51]
	v_add_f64_e32 v[78:79], v[80:81], v[78:79]
	s_delay_alu instid0(VALU_DEP_2) | instskip(SKIP_1) | instid1(VALU_DEP_2)
	v_fma_f64 v[140:141], v[30:31], s[0:1], v[126:127]
	v_fma_f64 v[80:81], v[30:31], s[0:1], -v[126:127]
	v_add_f64_e32 v[12:13], v[140:141], v[12:13]
	v_mul_f64_e32 v[140:141], s[26:27], v[48:49]
	s_delay_alu instid0(VALU_DEP_3) | instskip(NEXT) | instid1(VALU_DEP_2)
	v_add_f64_e32 v[76:77], v[80:81], v[76:77]
	v_fma_f64 v[142:143], v[28:29], s[0:1], -v[140:141]
	v_fma_f64 v[80:81], v[28:29], s[0:1], v[140:141]
	v_mul_f64_e32 v[140:141], s[30:31], v[62:63]
	s_delay_alu instid0(VALU_DEP_3) | instskip(SKIP_1) | instid1(VALU_DEP_4)
	v_add_f64_e32 v[14:15], v[142:143], v[14:15]
	v_mul_f64_e32 v[142:143], s[36:37], v[42:43]
	v_add_f64_e32 v[78:79], v[80:81], v[78:79]
	s_delay_alu instid0(VALU_DEP_2) | instskip(SKIP_3) | instid1(VALU_DEP_4)
	v_fma_f64 v[156:157], v[26:27], s[18:19], v[142:143]
	v_fma_f64 v[80:81], v[26:27], s[18:19], -v[142:143]
	v_mul_f64_e32 v[142:143], s[30:31], v[60:61]
	v_mul_f64_e32 v[60:61], s[28:29], v[60:61]
	v_add_f64_e32 v[12:13], v[156:157], v[12:13]
	v_mul_f64_e32 v[156:157], s[36:37], v[40:41]
	v_add_f64_e32 v[76:77], v[80:81], v[76:77]
	s_delay_alu instid0(VALU_DEP_2) | instskip(SKIP_2) | instid1(VALU_DEP_3)
	v_fma_f64 v[80:81], v[24:25], s[18:19], v[156:157]
	v_fma_f64 v[158:159], v[24:25], s[18:19], -v[156:157]
	v_mul_f64_e32 v[156:157], s[34:35], v[56:57]
	v_add_f64_e32 v[80:81], v[80:81], v[78:79]
	s_delay_alu instid0(VALU_DEP_3)
	v_add_f64_e32 v[158:159], v[158:159], v[14:15]
	v_fma_f64 v[14:15], v[22:23], s[12:13], v[160:161]
	v_fma_f64 v[78:79], v[22:23], s[12:13], -v[160:161]
	v_mul_f64_e32 v[160:161], s[54:55], v[48:49]
	v_add_f64_e32 v[177:178], v[82:83], v[80:81]
	v_fma_f64 v[80:81], v[52:53], s[12:13], v[104:105]
	v_fma_f64 v[82:83], v[54:55], s[12:13], -v[70:71]
	v_add_f64_e32 v[4:5], v[14:15], v[12:13]
	v_fma_f64 v[12:13], v[74:75], s[12:13], -v[162:163]
	v_mul_f64_e32 v[162:163], s[26:27], v[42:43]
	v_add_f64_e32 v[179:180], v[78:79], v[76:77]
	v_mul_f64_e32 v[78:79], s[40:41], v[40:41]
	v_mul_f64_e32 v[76:77], s[30:31], v[34:35]
	;; [unrolled: 1-line block ×3, first 2 shown]
	v_add_f64_e32 v[80:81], v[80:81], v[90:91]
	v_add_f64_e32 v[82:83], v[128:129], v[82:83]
	v_mul_f64_e32 v[128:129], s[22:23], v[64:65]
	v_add_f64_e32 v[2:3], v[12:13], v[158:159]
	v_mul_f64_e32 v[158:159], s[54:55], v[50:51]
	v_fma_f64 v[90:91], v[54:55], s[14:15], v[203:204]
	v_mul_f64_e32 v[12:13], s[28:29], v[56:57]
	v_add_f64_e32 v[80:81], v[84:85], v[80:81]
	v_fma_f64 v[84:85], v[44:45], s[20:21], -v[128:129]
	scratch_store_b128 off, v[2:5], off offset:924 ; 16-byte Folded Spill
	v_mul_f64_e32 v[2:3], s[28:29], v[64:65]
	v_add_f64_e32 v[90:91], v[0:1], v[90:91]
	v_mul_f64_e32 v[4:5], s[42:43], v[42:43]
	v_mul_f64_e32 v[0:1], s[36:37], v[32:33]
	;; [unrolled: 1-line block ×3, first 2 shown]
	v_add_f64_e32 v[82:83], v[84:85], v[82:83]
	v_fma_f64 v[84:85], v[38:39], s[2:3], v[140:141]
	scratch_store_b64 off, v[2:3], off offset:1004 ; 8-byte Folded Spill
	v_fma_f64 v[10:11], v[22:23], s[18:19], -v[0:1]
	v_fma_f64 v[0:1], v[22:23], s[18:19], v[0:1]
	v_add_f64_e32 v[80:81], v[84:85], v[80:81]
	v_fma_f64 v[84:85], v[36:37], s[2:3], -v[142:143]
	s_delay_alu instid0(VALU_DEP_1) | instskip(SKIP_1) | instid1(VALU_DEP_1)
	v_add_f64_e32 v[82:83], v[84:85], v[82:83]
	v_fma_f64 v[84:85], v[18:19], s[14:15], v[144:145]
	v_add_f64_e32 v[80:81], v[84:85], v[80:81]
	v_fma_f64 v[84:85], v[16:17], s[14:15], -v[156:157]
	s_delay_alu instid0(VALU_DEP_1) | instskip(SKIP_1) | instid1(VALU_DEP_1)
	v_add_f64_e32 v[82:83], v[84:85], v[82:83]
	;; [unrolled: 5-line block ×4, first 2 shown]
	v_fma_f64 v[82:83], v[22:23], s[16:17], v[169:170]
	v_add_f64_e32 v[175:176], v[82:83], v[80:81]
	v_fma_f64 v[80:81], v[74:75], s[16:17], -v[171:172]
	v_mul_f64_e32 v[82:83], s[22:23], v[50:51]
	v_mul_f64_e32 v[50:51], s[34:35], v[50:51]
	s_delay_alu instid0(VALU_DEP_3) | instskip(SKIP_2) | instid1(VALU_DEP_2)
	v_add_f64_e32 v[173:174], v[80:81], v[84:85]
	v_fma_f64 v[84:85], v[52:53], s[18:19], -v[152:153]
	v_mul_f64_e32 v[80:81], s[22:23], v[48:49]
	v_add_f64_e32 v[84:85], v[84:85], v[96:97]
	s_delay_alu instid0(VALU_DEP_1) | instskip(SKIP_2) | instid1(VALU_DEP_2)
	v_add_f64_e32 v[84:85], v[88:89], v[84:85]
	v_fma_f64 v[88:89], v[44:45], s[16:17], v[2:3]
	v_mul_f64_e32 v[2:3], s[42:43], v[40:41]
	v_add_f64_e32 v[86:87], v[88:89], v[86:87]
	v_fma_f64 v[88:89], v[38:39], s[14:15], -v[181:182]
	s_delay_alu instid0(VALU_DEP_3) | instskip(SKIP_1) | instid1(VALU_DEP_3)
	v_fma_f64 v[6:7], v[24:25], s[8:9], v[2:3]
	v_fma_f64 v[2:3], v[24:25], s[8:9], -v[2:3]
	v_add_f64_e32 v[84:85], v[88:89], v[84:85]
	v_fma_f64 v[88:89], v[36:37], s[14:15], v[183:184]
	s_delay_alu instid0(VALU_DEP_1) | instskip(SKIP_1) | instid1(VALU_DEP_1)
	v_add_f64_e32 v[86:87], v[88:89], v[86:87]
	v_fma_f64 v[88:89], v[18:19], s[12:13], -v[185:186]
	v_add_f64_e32 v[84:85], v[88:89], v[84:85]
	v_fma_f64 v[88:89], v[16:17], s[12:13], v[187:188]
	s_delay_alu instid0(VALU_DEP_1) | instskip(SKIP_1) | instid1(VALU_DEP_1)
	v_add_f64_e32 v[86:87], v[88:89], v[86:87]
	;; [unrolled: 5-line block ×4, first 2 shown]
	v_fma_f64 v[86:87], v[22:23], s[0:1], -v[197:198]
	v_add_f64_e32 v[148:149], v[86:87], v[84:85]
	v_fma_f64 v[84:85], v[74:75], s[0:1], v[199:200]
	v_mul_f64_e32 v[86:87], s[44:45], v[62:63]
	v_mul_f64_e32 v[62:63], s[28:29], v[62:63]
	s_delay_alu instid0(VALU_DEP_3) | instskip(SKIP_3) | instid1(VALU_DEP_3)
	v_add_f64_e32 v[146:147], v[84:85], v[88:89]
	v_fma_f64 v[88:89], v[52:53], s[14:15], -v[201:202]
	v_mul_f64_e32 v[84:85], s[36:37], v[56:57]
	v_mul_f64_e32 v[56:57], s[26:27], v[56:57]
	v_add_f64_e32 v[88:89], v[88:89], v[94:95]
	v_fma_f64 v[94:95], v[46:47], s[8:9], -v[120:121]
	s_delay_alu instid0(VALU_DEP_1) | instskip(SKIP_1) | instid1(VALU_DEP_1)
	v_add_f64_e32 v[88:89], v[94:95], v[88:89]
	v_fma_f64 v[94:95], v[44:45], s[8:9], v[205:206]
	v_add_f64_e32 v[90:91], v[94:95], v[90:91]
	v_fma_f64 v[94:95], v[38:39], s[0:1], -v[207:208]
	s_delay_alu instid0(VALU_DEP_1) | instskip(SKIP_1) | instid1(VALU_DEP_1)
	v_add_f64_e32 v[88:89], v[94:95], v[88:89]
	v_fma_f64 v[94:95], v[36:37], s[0:1], v[209:210]
	;; [unrolled: 5-line block ×5, first 2 shown]
	v_add_f64_e32 v[94:95], v[94:95], v[90:91]
	v_fma_f64 v[90:91], v[22:23], s[20:21], -v[165:166]
	s_delay_alu instid0(VALU_DEP_1) | instskip(SKIP_1) | instid1(VALU_DEP_1)
	v_add_f64_e32 v[126:127], v[90:91], v[88:89]
	v_mul_f64_e32 v[90:91], s[44:45], v[34:35]
	v_fma_f64 v[88:89], v[74:75], s[20:21], v[90:91]
	s_delay_alu instid0(VALU_DEP_1)
	v_add_f64_e32 v[124:125], v[88:89], v[94:95]
	v_fma_f64 v[94:95], v[52:53], s[8:9], -v[215:216]
	v_dual_mov_b32 v88, v113 :: v_dual_mov_b32 v113, v114
	v_mov_b32_e32 v89, v115
	v_mul_f64_e32 v[114:115], s[30:31], v[48:49]
	v_mul_f64_e32 v[48:49], s[34:35], v[48:49]
	v_add_f64_e32 v[92:93], v[94:95], v[92:93]
	v_fma_f64 v[94:95], v[54:55], s[8:9], v[218:219]
	s_delay_alu instid0(VALU_DEP_1) | instskip(SKIP_1) | instid1(VALU_DEP_1)
	v_add_f64_e32 v[94:95], v[134:135], v[94:95]
	v_mul_f64_e32 v[134:135], s[48:49], v[66:67]
	v_fma_f64 v[96:97], v[46:47], s[0:1], -v[134:135]
	s_delay_alu instid0(VALU_DEP_1) | instskip(SKIP_1) | instid1(VALU_DEP_1)
	v_add_f64_e32 v[92:93], v[96:97], v[92:93]
	v_fma_f64 v[96:97], v[44:45], s[0:1], v[220:221]
	v_add_f64_e32 v[94:95], v[96:97], v[94:95]
	v_fma_f64 v[96:97], v[38:39], s[12:13], -v[222:223]
	s_delay_alu instid0(VALU_DEP_1) | instskip(SKIP_1) | instid1(VALU_DEP_1)
	v_add_f64_e32 v[92:93], v[96:97], v[92:93]
	v_fma_f64 v[96:97], v[36:37], s[12:13], v[224:225]
	v_add_f64_e32 v[94:95], v[96:97], v[94:95]
	;; [unrolled: 5-line block ×6, first 2 shown]
	v_fma_f64 v[96:97], v[52:53], s[0:1], -v[122:123]
	s_delay_alu instid0(VALU_DEP_1) | instskip(SKIP_2) | instid1(VALU_DEP_2)
	v_add_f64_e32 v[96:97], v[96:97], v[154:155]
	v_mul_f64_e32 v[154:155], s[26:27], v[72:73]
	v_mul_f64_e32 v[72:73], s[38:39], v[72:73]
	v_fma_f64 v[98:99], v[54:55], s[0:1], v[154:155]
	s_delay_alu instid0(VALU_DEP_1) | instskip(SKIP_2) | instid1(VALU_DEP_2)
	v_add_f64_e32 v[98:99], v[118:119], v[98:99]
	v_mul_f64_e32 v[118:119], s[46:47], v[66:67]
	v_mul_f64_e32 v[66:67], s[36:37], v[66:67]
	v_fma_f64 v[68:69], v[46:47], s[12:13], -v[118:119]
	s_delay_alu instid0(VALU_DEP_1) | instskip(SKIP_1) | instid1(VALU_DEP_1)
	v_add_f64_e32 v[68:69], v[68:69], v[96:97]
	v_fma_f64 v[96:97], v[44:45], s[12:13], v[20:21]
	v_add_f64_e32 v[96:97], v[96:97], v[98:99]
	v_fma_f64 v[98:99], v[38:39], s[20:21], -v[86:87]
	s_delay_alu instid0(VALU_DEP_1) | instskip(SKIP_2) | instid1(VALU_DEP_2)
	v_add_f64_e32 v[68:69], v[98:99], v[68:69]
	v_fma_f64 v[98:99], v[36:37], s[20:21], v[8:9]
	v_fma_f64 v[8:9], v[36:37], s[20:21], -v[8:9]
	v_add_f64_e32 v[96:97], v[98:99], v[96:97]
	v_fma_f64 v[98:99], v[18:19], s[16:17], -v[107:108]
	s_delay_alu instid0(VALU_DEP_1) | instskip(SKIP_1) | instid1(VALU_DEP_1)
	v_add_f64_e32 v[68:69], v[98:99], v[68:69]
	v_fma_f64 v[98:99], v[16:17], s[16:17], v[12:13]
	v_add_f64_e32 v[96:97], v[98:99], v[96:97]
	v_fma_f64 v[98:99], v[30:31], s[2:3], -v[14:15]
	s_delay_alu instid0(VALU_DEP_1) | instskip(SKIP_1) | instid1(VALU_DEP_1)
	v_add_f64_e32 v[68:69], v[98:99], v[68:69]
	v_fma_f64 v[98:99], v[28:29], s[2:3], v[114:115]
	v_add_f64_e32 v[96:97], v[98:99], v[96:97]
	v_fma_f64 v[98:99], v[26:27], s[8:9], -v[4:5]
	v_fma_f64 v[4:5], v[26:27], s[8:9], v[4:5]
	s_delay_alu instid0(VALU_DEP_3) | instskip(NEXT) | instid1(VALU_DEP_3)
	v_add_f64_e32 v[6:7], v[6:7], v[96:97]
	v_add_f64_e32 v[68:69], v[98:99], v[68:69]
	s_delay_alu instid0(VALU_DEP_1) | instskip(SKIP_1) | instid1(VALU_DEP_1)
	v_add_f64_e32 v[98:99], v[10:11], v[68:69]
	v_mul_f64_e32 v[10:11], s[36:37], v[34:35]
	v_fma_f64 v[68:69], v[74:75], s[18:19], v[10:11]
	s_delay_alu instid0(VALU_DEP_1) | instskip(SKIP_2) | instid1(VALU_DEP_2)
	v_add_f64_e32 v[96:97], v[68:69], v[6:7]
	v_mul_f64_e32 v[6:7], s[38:39], v[100:101]
	v_fma_f64 v[100:101], v[54:55], s[2:3], v[72:73]
	v_fma_f64 v[68:69], v[52:53], s[2:3], -v[6:7]
	s_delay_alu instid0(VALU_DEP_2)
	v_add_f64_e32 v[100:101], v[116:117], v[100:101]
	v_fma_f64 v[116:117], v[46:47], s[18:19], -v[66:67]
	v_fma_f64 v[6:7], v[52:53], s[2:3], v[6:7]
	v_fma_f64 v[66:67], v[46:47], s[18:19], v[66:67]
	v_add_f64_e32 v[68:69], v[68:69], v[150:151]
	v_mul_f64_e32 v[150:151], s[24:25], v[34:35]
	s_delay_alu instid0(VALU_DEP_2) | instskip(SKIP_2) | instid1(VALU_DEP_2)
	v_add_f64_e32 v[68:69], v[116:117], v[68:69]
	v_fma_f64 v[116:117], v[44:45], s[18:19], v[64:65]
	v_fma_f64 v[64:65], v[44:45], s[18:19], -v[64:65]
	v_add_f64_e32 v[100:101], v[116:117], v[100:101]
	v_fma_f64 v[116:117], v[38:39], s[16:17], -v[62:63]
	v_fma_f64 v[62:63], v[38:39], s[16:17], v[62:63]
	s_delay_alu instid0(VALU_DEP_2) | instskip(SKIP_2) | instid1(VALU_DEP_2)
	v_add_f64_e32 v[68:69], v[116:117], v[68:69]
	v_fma_f64 v[116:117], v[36:37], s[16:17], v[60:61]
	v_fma_f64 v[60:61], v[36:37], s[16:17], -v[60:61]
	v_add_f64_e32 v[100:101], v[116:117], v[100:101]
	v_fma_f64 v[116:117], v[18:19], s[0:1], -v[58:59]
	v_fma_f64 v[58:59], v[18:19], s[0:1], v[58:59]
	;; [unrolled: 7-line block ×3, first 2 shown]
	s_delay_alu instid0(VALU_DEP_2) | instskip(SKIP_2) | instid1(VALU_DEP_2)
	v_add_f64_e32 v[68:69], v[116:117], v[68:69]
	v_fma_f64 v[116:117], v[28:29], s[14:15], v[48:49]
	v_fma_f64 v[48:49], v[28:29], s[14:15], -v[48:49]
	v_add_f64_e32 v[100:101], v[116:117], v[100:101]
	v_mul_f64_e32 v[116:117], s[22:23], v[42:43]
	s_delay_alu instid0(VALU_DEP_1) | instskip(NEXT) | instid1(VALU_DEP_1)
	v_fma_f64 v[42:43], v[26:27], s[20:21], -v[116:117]
	v_add_f64_e32 v[42:43], v[42:43], v[68:69]
	v_mul_f64_e32 v[68:69], s[22:23], v[40:41]
	s_delay_alu instid0(VALU_DEP_1) | instskip(NEXT) | instid1(VALU_DEP_1)
	v_fma_f64 v[40:41], v[24:25], s[20:21], v[68:69]
	v_add_f64_e32 v[40:41], v[40:41], v[100:101]
	v_mul_f64_e32 v[100:101], s[24:25], v[32:33]
	s_delay_alu instid0(VALU_DEP_1) | instskip(NEXT) | instid1(VALU_DEP_1)
	v_fma_f64 v[32:33], v[22:23], s[8:9], -v[100:101]
	v_add_f64_e32 v[34:35], v[32:33], v[42:43]
	scratch_load_b64 v[42:43], off, off offset:996 th:TH_LOAD_LU ; 8-byte Folded Reload
	v_fma_f64 v[32:33], v[74:75], s[8:9], v[150:151]
	s_delay_alu instid0(VALU_DEP_1) | instskip(SKIP_3) | instid1(VALU_DEP_2)
	v_add_f64_e32 v[32:33], v[32:33], v[40:41]
	v_fma_f64 v[40:41], v[52:53], s[12:13], -v[104:105]
	v_fma_f64 v[104:105], v[74:75], s[16:17], v[171:172]
	s_wait_loadcnt 0x0
	v_add_f64_e32 v[40:41], v[40:41], v[42:43]
	v_fma_f64 v[42:43], v[54:55], s[12:13], v[70:71]
	scratch_load_b64 v[70:71], off, off offset:988 th:TH_LOAD_LU ; 8-byte Folded Reload
	s_wait_loadcnt 0x0
	v_add_f64_e32 v[42:43], v[70:71], v[42:43]
	v_fma_f64 v[70:71], v[46:47], s[20:21], -v[102:103]
	s_delay_alu instid0(VALU_DEP_1) | instskip(SKIP_1) | instid1(VALU_DEP_1)
	v_add_f64_e32 v[40:41], v[70:71], v[40:41]
	v_fma_f64 v[70:71], v[44:45], s[20:21], v[128:129]
	v_add_f64_e32 v[42:43], v[70:71], v[42:43]
	v_fma_f64 v[70:71], v[38:39], s[2:3], -v[140:141]
	s_delay_alu instid0(VALU_DEP_1) | instskip(SKIP_1) | instid1(VALU_DEP_1)
	v_add_f64_e32 v[40:41], v[70:71], v[40:41]
	v_fma_f64 v[70:71], v[36:37], s[2:3], v[142:143]
	;; [unrolled: 5-line block ×5, first 2 shown]
	v_add_f64_e32 v[70:71], v[70:71], v[42:43]
	v_fma_f64 v[42:43], v[22:23], s[16:17], -v[169:170]
	s_delay_alu instid0(VALU_DEP_1) | instskip(NEXT) | instid1(VALU_DEP_3)
	v_add_f64_e32 v[42:43], v[42:43], v[40:41]
	v_add_f64_e32 v[40:41], v[104:105], v[70:71]
	s_clause 0x2
	scratch_load_b32 v105, off, off offset:28
	scratch_load_b32 v104, off, off offset:12
	scratch_load_b64 v[70:71], off, off offset:980 th:TH_LOAD_LU
	s_wait_loadcnt 0x0
	v_add_f64_e32 v[6:7], v[6:7], v[70:71]
	v_fma_f64 v[70:71], v[54:55], s[2:3], -v[72:73]
	scratch_load_b64 v[72:73], off, off offset:972 th:TH_LOAD_LU ; 8-byte Folded Reload
	v_add_f64_e32 v[6:7], v[66:67], v[6:7]
	s_delay_alu instid0(VALU_DEP_1) | instskip(NEXT) | instid1(VALU_DEP_1)
	v_add_f64_e32 v[6:7], v[62:63], v[6:7]
	v_add_f64_e32 v[6:7], v[58:59], v[6:7]
	v_fma_f64 v[58:59], v[44:45], s[12:13], -v[20:21]
	s_delay_alu instid0(VALU_DEP_2) | instskip(SKIP_1) | instid1(VALU_DEP_1)
	v_add_f64_e32 v[6:7], v[50:51], v[6:7]
	v_fma_f64 v[50:51], v[26:27], s[20:21], v[116:117]
	v_add_f64_e32 v[6:7], v[50:51], v[6:7]
	v_fma_f64 v[50:51], v[24:25], s[20:21], -v[68:69]
	s_wait_loadcnt 0x0
	v_add_f64_e32 v[70:71], v[72:73], v[70:71]
	s_delay_alu instid0(VALU_DEP_1) | instskip(NEXT) | instid1(VALU_DEP_1)
	v_add_f64_e32 v[64:65], v[64:65], v[70:71]
	v_add_f64_e32 v[60:61], v[60:61], v[64:65]
	s_delay_alu instid0(VALU_DEP_1) | instskip(NEXT) | instid1(VALU_DEP_1)
	v_add_f64_e32 v[56:57], v[56:57], v[60:61]
	v_add_f64_e32 v[48:49], v[48:49], v[56:57]
	v_fma_f64 v[56:57], v[74:75], s[8:9], -v[150:151]
	s_delay_alu instid0(VALU_DEP_2) | instskip(SKIP_1) | instid1(VALU_DEP_2)
	v_add_f64_e32 v[48:49], v[50:51], v[48:49]
	v_fma_f64 v[50:51], v[22:23], s[8:9], v[100:101]
	v_add_f64_e32 v[48:49], v[56:57], v[48:49]
	scratch_load_b64 v[56:57], off, off offset:964 th:TH_LOAD_LU ; 8-byte Folded Reload
	v_add_f64_e32 v[50:51], v[50:51], v[6:7]
	v_fma_f64 v[6:7], v[52:53], s[0:1], v[122:123]
	s_wait_loadcnt 0x0
	s_delay_alu instid0(VALU_DEP_1) | instskip(SKIP_1) | instid1(VALU_DEP_1)
	v_add_f64_e32 v[6:7], v[6:7], v[56:57]
	v_fma_f64 v[56:57], v[46:47], s[12:13], v[118:119]
	v_add_f64_e32 v[6:7], v[56:57], v[6:7]
	v_fma_f64 v[56:57], v[38:39], s[20:21], v[86:87]
	s_delay_alu instid0(VALU_DEP_1)
	v_add_f64_e32 v[6:7], v[56:57], v[6:7]
	v_fma_f64 v[56:57], v[18:19], s[16:17], v[107:108]
	scratch_load_b32 v108, off, off offset:8 ; 4-byte Folded Reload
	v_add_f64_e32 v[6:7], v[56:57], v[6:7]
	v_fma_f64 v[56:57], v[30:31], s[2:3], v[14:15]
	scratch_load_b64 v[14:15], off, off offset:956 th:TH_LOAD_LU ; 8-byte Folded Reload
	v_add_f64_e32 v[6:7], v[56:57], v[6:7]
	v_fma_f64 v[56:57], v[54:55], s[0:1], -v[154:155]
	s_delay_alu instid0(VALU_DEP_2) | instskip(SKIP_2) | instid1(VALU_DEP_3)
	v_add_f64_e32 v[4:5], v[4:5], v[6:7]
	v_fma_f64 v[6:7], v[74:75], s[18:19], -v[10:11]
	s_wait_loadcnt 0x0
	v_add_f64_e32 v[56:57], v[14:15], v[56:57]
	s_delay_alu instid0(VALU_DEP_1) | instskip(NEXT) | instid1(VALU_DEP_4)
	v_add_f64_e32 v[56:57], v[58:59], v[56:57]
	v_add_f64_e32 v[58:59], v[0:1], v[4:5]
	v_fma_f64 v[0:1], v[52:53], s[8:9], v[215:216]
	scratch_load_b64 v[4:5], off, off offset:940 th:TH_LOAD_LU ; 8-byte Folded Reload
	v_add_f64_e32 v[8:9], v[8:9], v[56:57]
	v_fma_f64 v[56:57], v[16:17], s[16:17], -v[12:13]
	s_delay_alu instid0(VALU_DEP_1) | instskip(SKIP_3) | instid1(VALU_DEP_3)
	v_add_f64_e32 v[8:9], v[56:57], v[8:9]
	v_fma_f64 v[56:57], v[28:29], s[2:3], -v[114:115]
	v_dual_mov_b32 v114, v113 :: v_dual_mov_b32 v115, v89
	v_mov_b32_e32 v113, v88
	v_add_f64_e32 v[8:9], v[56:57], v[8:9]
	s_delay_alu instid0(VALU_DEP_1)
	v_add_f64_e32 v[2:3], v[2:3], v[8:9]
	scratch_load_b64 v[8:9], off, off offset:76 th:TH_LOAD_LU ; 8-byte Folded Reload
	v_add_f64_e32 v[56:57], v[6:7], v[2:3]
	scratch_load_b64 v[2:3], off, off offset:948 th:TH_LOAD_LU ; 8-byte Folded Reload
	v_fma_f64 v[6:7], v[74:75], s[2:3], -v[76:77]
	s_wait_loadcnt 0x0
	v_add_f64_e32 v[0:1], v[0:1], v[2:3]
	v_fma_f64 v[2:3], v[54:55], s[8:9], -v[218:219]
	s_delay_alu instid0(VALU_DEP_1) | instskip(SKIP_1) | instid1(VALU_DEP_1)
	v_add_f64_e32 v[2:3], v[4:5], v[2:3]
	v_fma_f64 v[4:5], v[46:47], s[0:1], v[134:135]
	v_add_f64_e32 v[0:1], v[4:5], v[0:1]
	v_fma_f64 v[4:5], v[44:45], s[0:1], -v[220:221]
	s_delay_alu instid0(VALU_DEP_1) | instskip(SKIP_1) | instid1(VALU_DEP_1)
	v_add_f64_e32 v[2:3], v[4:5], v[2:3]
	v_fma_f64 v[4:5], v[38:39], s[12:13], v[222:223]
	v_add_f64_e32 v[0:1], v[4:5], v[0:1]
	v_fma_f64 v[4:5], v[36:37], s[12:13], -v[224:225]
	s_delay_alu instid0(VALU_DEP_1) | instskip(SKIP_1) | instid1(VALU_DEP_1)
	v_add_f64_e32 v[2:3], v[4:5], v[2:3]
	v_fma_f64 v[4:5], v[18:19], s[18:19], v[226:227]
	v_add_f64_e32 v[0:1], v[4:5], v[0:1]
	v_fma_f64 v[4:5], v[16:17], s[18:19], -v[84:85]
	s_delay_alu instid0(VALU_DEP_1) | instskip(SKIP_1) | instid1(VALU_DEP_1)
	v_add_f64_e32 v[2:3], v[4:5], v[2:3]
	v_fma_f64 v[4:5], v[30:31], s[20:21], v[82:83]
	v_add_f64_e32 v[0:1], v[4:5], v[0:1]
	v_fma_f64 v[4:5], v[28:29], s[20:21], -v[80:81]
	s_delay_alu instid0(VALU_DEP_1) | instskip(SKIP_1) | instid1(VALU_DEP_1)
	v_add_f64_e32 v[2:3], v[4:5], v[2:3]
	v_fma_f64 v[4:5], v[26:27], s[14:15], v[132:133]
	v_add_f64_e32 v[0:1], v[4:5], v[0:1]
	v_fma_f64 v[4:5], v[24:25], s[14:15], -v[78:79]
	s_delay_alu instid0(VALU_DEP_1) | instskip(SKIP_1) | instid1(VALU_DEP_2)
	v_add_f64_e32 v[2:3], v[4:5], v[2:3]
	v_fma_f64 v[4:5], v[22:23], s[2:3], v[138:139]
	v_add_f64_e32 v[60:61], v[6:7], v[2:3]
	scratch_load_b64 v[2:3], off, off offset:916 th:TH_LOAD_LU ; 8-byte Folded Reload
	v_add_f64_e32 v[62:63], v[4:5], v[0:1]
	scratch_load_b64 v[4:5], off, off offset:908 th:TH_LOAD_LU ; 8-byte Folded Reload
	v_fma_f64 v[0:1], v[52:53], s[14:15], v[201:202]
	v_fma_f64 v[6:7], v[74:75], s[20:21], -v[90:91]
	s_wait_loadcnt 0x1
	s_delay_alu instid0(VALU_DEP_2) | instskip(SKIP_2) | instid1(VALU_DEP_1)
	v_add_f64_e32 v[0:1], v[0:1], v[2:3]
	v_fma_f64 v[2:3], v[54:55], s[14:15], -v[203:204]
	s_wait_loadcnt 0x0
	v_add_f64_e32 v[2:3], v[4:5], v[2:3]
	v_fma_f64 v[4:5], v[46:47], s[8:9], v[120:121]
	s_delay_alu instid0(VALU_DEP_1) | instskip(SKIP_1) | instid1(VALU_DEP_1)
	v_add_f64_e32 v[0:1], v[4:5], v[0:1]
	v_fma_f64 v[4:5], v[44:45], s[8:9], -v[205:206]
	v_add_f64_e32 v[2:3], v[4:5], v[2:3]
	v_fma_f64 v[4:5], v[38:39], s[0:1], v[207:208]
	s_delay_alu instid0(VALU_DEP_1) | instskip(SKIP_1) | instid1(VALU_DEP_1)
	v_add_f64_e32 v[0:1], v[4:5], v[0:1]
	v_fma_f64 v[4:5], v[36:37], s[0:1], -v[209:210]
	;; [unrolled: 5-line block ×5, first 2 shown]
	v_add_f64_e32 v[2:3], v[4:5], v[2:3]
	v_fma_f64 v[4:5], v[22:23], s[20:21], v[165:166]
	s_delay_alu instid0(VALU_DEP_2)
	v_add_f64_e32 v[64:65], v[6:7], v[2:3]
	scratch_load_b64 v[6:7], off, off offset:108 th:TH_LOAD_LU ; 8-byte Folded Reload
	v_add_f64_e32 v[66:67], v[4:5], v[0:1]
	v_fma_f64 v[0:1], v[52:53], s[18:19], v[152:153]
	v_fma_f64 v[2:3], v[54:55], s[18:19], -v[136:137]
	v_fma_f64 v[4:5], v[46:47], s[16:17], v[130:131]
	s_delay_alu instid0(VALU_DEP_2)
	v_add_f64_e32 v[2:3], v[8:9], v[2:3]
	v_fma_f64 v[8:9], v[38:39], s[14:15], v[181:182]
	s_wait_loadcnt 0x0
	v_add_f64_e32 v[0:1], v[0:1], v[6:7]
	scratch_load_b64 v[6:7], off, off offset:1004 th:TH_LOAD_LU ; 8-byte Folded Reload
	v_add_f64_e32 v[0:1], v[4:5], v[0:1]
	v_fma_f64 v[4:5], v[36:37], s[14:15], -v[183:184]
	s_delay_alu instid0(VALU_DEP_2) | instskip(SKIP_3) | instid1(VALU_DEP_1)
	v_add_f64_e32 v[0:1], v[8:9], v[0:1]
	v_fma_f64 v[8:9], v[16:17], s[12:13], -v[187:188]
	s_wait_loadcnt 0x0
	v_fma_f64 v[6:7], v[44:45], s[16:17], -v[6:7]
	v_add_f64_e32 v[2:3], v[6:7], v[2:3]
	v_fma_f64 v[6:7], v[18:19], s[12:13], v[185:186]
	s_delay_alu instid0(VALU_DEP_2) | instskip(SKIP_1) | instid1(VALU_DEP_3)
	v_add_f64_e32 v[2:3], v[4:5], v[2:3]
	v_fma_f64 v[4:5], v[30:31], s[8:9], v[189:190]
	v_add_f64_e32 v[0:1], v[6:7], v[0:1]
	v_fma_f64 v[6:7], v[28:29], s[8:9], -v[191:192]
	s_delay_alu instid0(VALU_DEP_4) | instskip(SKIP_1) | instid1(VALU_DEP_4)
	v_add_f64_e32 v[2:3], v[8:9], v[2:3]
	v_fma_f64 v[8:9], v[26:27], s[2:3], v[193:194]
	v_add_f64_e32 v[0:1], v[4:5], v[0:1]
	v_fma_f64 v[4:5], v[24:25], s[2:3], -v[195:196]
	s_delay_alu instid0(VALU_DEP_4) | instskip(SKIP_1) | instid1(VALU_DEP_4)
	v_add_f64_e32 v[2:3], v[6:7], v[2:3]
	v_fma_f64 v[6:7], v[22:23], s[0:1], v[197:198]
	v_add_f64_e32 v[0:1], v[8:9], v[0:1]
	v_fma_f64 v[8:9], v[74:75], s[0:1], -v[199:200]
	s_delay_alu instid0(VALU_DEP_4) | instskip(NEXT) | instid1(VALU_DEP_3)
	v_add_f64_e32 v[2:3], v[4:5], v[2:3]
	v_add_f64_e32 v[18:19], v[6:7], v[0:1]
	v_lshl_add_u32 v0, v106, 4, v217
	s_delay_alu instid0(VALU_DEP_3)
	v_add_f64_e32 v[16:17], v[8:9], v[2:3]
	scratch_load_b128 v[1:4], off, off offset:44 th:TH_LOAD_LU ; 16-byte Folded Reload
	s_wait_loadcnt 0x0
	ds_store_b128 v0, v[1:4]
	ds_store_b128 v0, v[146:149] offset:16
	ds_store_b128 v0, v[124:127] offset:32
	;; [unrolled: 1-line block ×7, first 2 shown]
	scratch_load_b128 v[1:4], off, off offset:92 th:TH_LOAD_LU ; 16-byte Folded Reload
	s_wait_loadcnt 0x0
	ds_store_b128 v0, v[1:4] offset:128
	scratch_load_b128 v[1:4], off, off offset:60 th:TH_LOAD_LU ; 16-byte Folded Reload
	s_wait_loadcnt 0x0
	ds_store_b128 v0, v[1:4] offset:144
	;; [unrolled: 3-line block ×3, first 2 shown]
	ds_store_b128 v0, v[173:176] offset:176
	ds_store_b128 v0, v[48:51] offset:192
	;; [unrolled: 1-line block ×6, first 2 shown]
.LBB0_13:
	s_or_b32 exec_lo, exec_lo, s33
	global_wb scope:SCOPE_SE
	s_wait_storecnt_dscnt 0x0
	s_barrier_signal -1
	s_barrier_wait -1
	global_inv scope:SCOPE_SE
	ds_load_b128 v[0:3], v164 offset:2176
	scratch_load_b128 v[24:27], off, off offset:420 th:TH_LOAD_LU ; 16-byte Folded Reload
	s_mov_b32 s0, 0xe8584caa
	s_mov_b32 s1, 0xbfebb67a
	;; [unrolled: 1-line block ×3, first 2 shown]
	s_wait_alu 0xfffe
	s_mov_b32 s2, s0
	s_mul_u64 s[8:9], s[4:5], 0x300
	s_wait_dscnt 0x0
	v_mul_f64_e32 v[4:5], v[230:231], v[2:3]
	s_delay_alu instid0(VALU_DEP_1) | instskip(SKIP_1) | instid1(VALU_DEP_1)
	v_fma_f64 v[4:5], v[228:229], v[0:1], v[4:5]
	v_mul_f64_e32 v[0:1], v[230:231], v[0:1]
	v_fma_f64 v[6:7], v[228:229], v[2:3], -v[0:1]
	ds_load_b128 v[0:3], v164 offset:2448
	s_wait_dscnt 0x0
	v_mul_f64_e32 v[8:9], v[230:231], v[2:3]
	s_delay_alu instid0(VALU_DEP_1) | instskip(SKIP_1) | instid1(VALU_DEP_1)
	v_fma_f64 v[16:17], v[228:229], v[0:1], v[8:9]
	v_mul_f64_e32 v[0:1], v[230:231], v[0:1]
	v_fma_f64 v[18:19], v[228:229], v[2:3], -v[0:1]
	ds_load_b128 v[0:3], v164 offset:4352
	;; [unrolled: 7-line block ×3, first 2 shown]
	s_wait_dscnt 0x0
	v_mul_f64_e32 v[12:13], v[111:112], v[2:3]
	v_add_f64_e32 v[14:15], v[6:7], v[10:11]
	s_delay_alu instid0(VALU_DEP_2) | instskip(SKIP_1) | instid1(VALU_DEP_1)
	v_fma_f64 v[20:21], v[109:110], v[0:1], v[12:13]
	v_mul_f64_e32 v[0:1], v[111:112], v[0:1]
	v_fma_f64 v[22:23], v[109:110], v[2:3], -v[0:1]
	ds_load_b128 v[0:3], v164 offset:2720
	s_wait_dscnt 0x0
	v_mul_f64_e32 v[12:13], v[238:239], v[2:3]
	s_delay_alu instid0(VALU_DEP_1) | instskip(SKIP_1) | instid1(VALU_DEP_1)
	v_fma_f64 v[28:29], v[236:237], v[0:1], v[12:13]
	v_mul_f64_e32 v[0:1], v[238:239], v[0:1]
	v_fma_f64 v[30:31], v[236:237], v[2:3], -v[0:1]
	ds_load_b128 v[0:3], v164 offset:4896
	s_wait_dscnt 0x0
	v_mul_f64_e32 v[12:13], v[234:235], v[2:3]
	s_delay_alu instid0(VALU_DEP_1) | instskip(SKIP_1) | instid1(VALU_DEP_2)
	v_fma_f64 v[32:33], v[232:233], v[0:1], v[12:13]
	v_mul_f64_e32 v[0:1], v[234:235], v[0:1]
	v_add_f64_e32 v[36:37], v[28:29], v[32:33]
	s_delay_alu instid0(VALU_DEP_2) | instskip(SKIP_4) | instid1(VALU_DEP_2)
	v_fma_f64 v[34:35], v[232:233], v[2:3], -v[0:1]
	ds_load_b128 v[0:3], v164 offset:2992
	s_wait_dscnt 0x0
	v_mul_f64_e32 v[12:13], v[242:243], v[2:3]
	v_add_f64_e32 v[38:39], v[30:31], v[34:35]
	v_fma_f64 v[56:57], v[240:241], v[0:1], v[12:13]
	v_mul_f64_e32 v[0:1], v[242:243], v[0:1]
	s_delay_alu instid0(VALU_DEP_1) | instskip(SKIP_3) | instid1(VALU_DEP_1)
	v_fma_f64 v[58:59], v[240:241], v[2:3], -v[0:1]
	ds_load_b128 v[0:3], v164 offset:5168
	s_wait_loadcnt_dscnt 0x0
	v_mul_f64_e32 v[12:13], v[26:27], v[2:3]
	v_fma_f64 v[60:61], v[24:25], v[0:1], v[12:13]
	v_mul_f64_e32 v[0:1], v[26:27], v[0:1]
	s_delay_alu instid0(VALU_DEP_1) | instskip(SKIP_4) | instid1(VALU_DEP_1)
	v_fma_f64 v[62:63], v[24:25], v[2:3], -v[0:1]
	scratch_load_b128 v[24:27], off, off offset:484 th:TH_LOAD_LU ; 16-byte Folded Reload
	ds_load_b128 v[0:3], v164 offset:3264
	s_wait_loadcnt_dscnt 0x0
	v_mul_f64_e32 v[12:13], v[26:27], v[2:3]
	v_fma_f64 v[64:65], v[24:25], v[0:1], v[12:13]
	v_mul_f64_e32 v[0:1], v[26:27], v[0:1]
	s_delay_alu instid0(VALU_DEP_1) | instskip(SKIP_4) | instid1(VALU_DEP_1)
	v_fma_f64 v[66:67], v[24:25], v[2:3], -v[0:1]
	scratch_load_b128 v[24:27], off, off offset:436 th:TH_LOAD_LU ; 16-byte Folded Reload
	;; [unrolled: 8-line block ×7, first 2 shown]
	ds_load_b128 v[0:3], v164 offset:4080
	s_wait_dscnt 0x0
	v_mul_f64_e32 v[12:13], v[246:247], v[2:3]
	v_fma_f64 v[88:89], v[244:245], v[0:1], v[12:13]
	v_mul_f64_e32 v[0:1], v[246:247], v[0:1]
	s_delay_alu instid0(VALU_DEP_1) | instskip(SKIP_3) | instid1(VALU_DEP_1)
	v_fma_f64 v[90:91], v[244:245], v[2:3], -v[0:1]
	ds_load_b128 v[0:3], v164 offset:6256
	s_wait_loadcnt_dscnt 0x0
	v_mul_f64_e32 v[12:13], v[26:27], v[2:3]
	v_fma_f64 v[92:93], v[24:25], v[0:1], v[12:13]
	v_mul_f64_e32 v[0:1], v[26:27], v[0:1]
	v_add_f64_e32 v[12:13], v[4:5], v[8:9]
	v_add_f64_e32 v[26:27], v[18:19], v[22:23]
	s_delay_alu instid0(VALU_DEP_3)
	v_fma_f64 v[94:95], v[24:25], v[2:3], -v[0:1]
	ds_load_b128 v[0:3], v164
	v_add_f64_e32 v[24:25], v[16:17], v[20:21]
	s_wait_dscnt 0x0
	v_fma_f64 v[14:15], v[14:15], -0.5, v[2:3]
	v_add_f64_e32 v[2:3], v[2:3], v[6:7]
	v_fma_f64 v[12:13], v[12:13], -0.5, v[0:1]
	v_add_f64_e32 v[0:1], v[0:1], v[4:5]
	v_add_f64_e64 v[6:7], v[6:7], -v[10:11]
	s_delay_alu instid0(VALU_DEP_4) | instskip(SKIP_1) | instid1(VALU_DEP_4)
	v_add_f64_e32 v[2:3], v[2:3], v[10:11]
	v_add_f64_e64 v[10:11], v[4:5], -v[8:9]
	v_add_f64_e32 v[0:1], v[0:1], v[8:9]
	s_delay_alu instid0(VALU_DEP_4) | instskip(SKIP_2) | instid1(VALU_DEP_4)
	v_fma_f64 v[4:5], v[6:7], s[0:1], v[12:13]
	s_wait_alu 0xfffe
	v_fma_f64 v[8:9], v[6:7], s[2:3], v[12:13]
	v_fma_f64 v[6:7], v[10:11], s[2:3], v[14:15]
	;; [unrolled: 1-line block ×3, first 2 shown]
	ds_load_b128 v[12:15], v164 offset:272
	s_wait_dscnt 0x0
	v_fma_f64 v[26:27], v[26:27], -0.5, v[14:15]
	v_add_f64_e32 v[14:15], v[14:15], v[18:19]
	v_fma_f64 v[24:25], v[24:25], -0.5, v[12:13]
	v_add_f64_e32 v[12:13], v[12:13], v[16:17]
	v_add_f64_e64 v[18:19], v[18:19], -v[22:23]
	s_delay_alu instid0(VALU_DEP_4) | instskip(SKIP_1) | instid1(VALU_DEP_4)
	v_add_f64_e32 v[14:15], v[14:15], v[22:23]
	v_add_f64_e64 v[22:23], v[16:17], -v[20:21]
	v_add_f64_e32 v[12:13], v[12:13], v[20:21]
	s_delay_alu instid0(VALU_DEP_4) | instskip(SKIP_1) | instid1(VALU_DEP_4)
	v_fma_f64 v[16:17], v[18:19], s[0:1], v[24:25]
	v_fma_f64 v[20:21], v[18:19], s[2:3], v[24:25]
	;; [unrolled: 1-line block ×4, first 2 shown]
	ds_load_b128 v[24:27], v164 offset:544
	s_wait_dscnt 0x0
	v_fma_f64 v[38:39], v[38:39], -0.5, v[26:27]
	v_add_f64_e32 v[26:27], v[26:27], v[30:31]
	v_fma_f64 v[36:37], v[36:37], -0.5, v[24:25]
	v_add_f64_e32 v[24:25], v[24:25], v[28:29]
	v_add_f64_e64 v[30:31], v[30:31], -v[34:35]
	s_delay_alu instid0(VALU_DEP_4) | instskip(SKIP_1) | instid1(VALU_DEP_4)
	v_add_f64_e32 v[26:27], v[26:27], v[34:35]
	v_add_f64_e64 v[34:35], v[28:29], -v[32:33]
	v_add_f64_e32 v[24:25], v[24:25], v[32:33]
	s_delay_alu instid0(VALU_DEP_4) | instskip(SKIP_1) | instid1(VALU_DEP_4)
	v_fma_f64 v[28:29], v[30:31], s[0:1], v[36:37]
	v_fma_f64 v[32:33], v[30:31], s[2:3], v[36:37]
	;; [unrolled: 1-line block ×4, first 2 shown]
	ds_load_b128 v[36:39], v164 offset:816
	ds_load_b128 v[40:43], v164 offset:1088
	ds_load_b128 v[44:47], v164 offset:1360
	ds_load_b128 v[48:51], v164 offset:1632
	ds_load_b128 v[52:55], v164 offset:1904
	global_wb scope:SCOPE_SE
	s_wait_dscnt 0x0
	s_barrier_signal -1
	s_barrier_wait -1
	global_inv scope:SCOPE_SE
	ds_store_b128 v164, v[0:3]
	ds_store_b128 v164, v[12:15] offset:816
	ds_store_b128 v164, v[4:7] offset:272
	;; [unrolled: 1-line block ×5, first 2 shown]
	scratch_load_b32 v0, off, off offset:884 th:TH_LOAD_LU ; 4-byte Folded Reload
	v_add_f64_e64 v[8:9], v[58:59], -v[62:63]
	v_add_f64_e64 v[12:13], v[56:57], -v[60:61]
	s_wait_loadcnt 0x0
	ds_store_b128 v0, v[24:27] offset:1632
	ds_store_b128 v0, v[28:31] offset:1904
	;; [unrolled: 1-line block ×3, first 2 shown]
	v_add_f64_e32 v[0:1], v[56:57], v[60:61]
	v_add_f64_e32 v[4:5], v[36:37], v[56:57]
	s_delay_alu instid0(VALU_DEP_2) | instskip(SKIP_1) | instid1(VALU_DEP_1)
	v_fma_f64 v[6:7], v[0:1], -0.5, v[36:37]
	v_add_f64_e32 v[0:1], v[58:59], v[62:63]
	v_fma_f64 v[10:11], v[0:1], -0.5, v[38:39]
	v_add_f64_e32 v[0:1], v[38:39], v[58:59]
	s_delay_alu instid0(VALU_DEP_1)
	v_add_f64_e32 v[2:3], v[0:1], v[62:63]
	v_add_f64_e32 v[0:1], v[4:5], v[60:61]
	v_fma_f64 v[4:5], v[8:9], s[0:1], v[6:7]
	v_fma_f64 v[8:9], v[8:9], s[2:3], v[6:7]
	;; [unrolled: 1-line block ×4, first 2 shown]
	scratch_load_b32 v12, off, off offset:876 th:TH_LOAD_LU ; 4-byte Folded Reload
	s_wait_loadcnt 0x0
	ds_store_b128 v12, v[0:3] offset:2448
	ds_store_b128 v12, v[4:7] offset:2720
	;; [unrolled: 1-line block ×3, first 2 shown]
	v_add_f64_e32 v[0:1], v[64:65], v[68:69]
	v_add_f64_e32 v[4:5], v[40:41], v[64:65]
	v_add_f64_e64 v[8:9], v[66:67], -v[70:71]
	v_add_f64_e64 v[12:13], v[64:65], -v[68:69]
	s_delay_alu instid0(VALU_DEP_4) | instskip(SKIP_1) | instid1(VALU_DEP_1)
	v_fma_f64 v[6:7], v[0:1], -0.5, v[40:41]
	v_add_f64_e32 v[0:1], v[66:67], v[70:71]
	v_fma_f64 v[10:11], v[0:1], -0.5, v[42:43]
	v_add_f64_e32 v[0:1], v[42:43], v[66:67]
	s_delay_alu instid0(VALU_DEP_1)
	v_add_f64_e32 v[2:3], v[0:1], v[70:71]
	v_add_f64_e32 v[0:1], v[4:5], v[68:69]
	v_fma_f64 v[4:5], v[8:9], s[0:1], v[6:7]
	v_fma_f64 v[8:9], v[8:9], s[2:3], v[6:7]
	;; [unrolled: 1-line block ×4, first 2 shown]
	scratch_load_b32 v12, off, off offset:868 th:TH_LOAD_LU ; 4-byte Folded Reload
	s_wait_loadcnt 0x0
	ds_store_b128 v12, v[0:3] offset:3264
	ds_store_b128 v12, v[4:7] offset:3536
	ds_store_b128 v12, v[8:11] offset:3808
	v_add_f64_e32 v[0:1], v[72:73], v[76:77]
	v_add_f64_e32 v[4:5], v[44:45], v[72:73]
	v_add_f64_e64 v[8:9], v[74:75], -v[78:79]
	v_add_f64_e64 v[12:13], v[72:73], -v[76:77]
	s_delay_alu instid0(VALU_DEP_4) | instskip(SKIP_1) | instid1(VALU_DEP_1)
	v_fma_f64 v[6:7], v[0:1], -0.5, v[44:45]
	v_add_f64_e32 v[0:1], v[74:75], v[78:79]
	v_fma_f64 v[10:11], v[0:1], -0.5, v[46:47]
	v_add_f64_e32 v[0:1], v[46:47], v[74:75]
	s_delay_alu instid0(VALU_DEP_1)
	v_add_f64_e32 v[2:3], v[0:1], v[78:79]
	v_add_f64_e32 v[0:1], v[4:5], v[76:77]
	v_fma_f64 v[4:5], v[8:9], s[0:1], v[6:7]
	v_fma_f64 v[8:9], v[8:9], s[2:3], v[6:7]
	v_fma_f64 v[6:7], v[12:13], s[2:3], v[10:11]
	v_fma_f64 v[10:11], v[12:13], s[0:1], v[10:11]
	ds_store_b128 v115, v[0:3] offset:4080
	ds_store_b128 v115, v[4:7] offset:4352
	ds_store_b128 v115, v[8:11] offset:4624
	v_add_f64_e32 v[0:1], v[80:81], v[84:85]
	v_add_f64_e32 v[4:5], v[48:49], v[80:81]
	v_add_f64_e64 v[8:9], v[82:83], -v[86:87]
	v_add_f64_e64 v[12:13], v[80:81], -v[84:85]
	s_delay_alu instid0(VALU_DEP_4) | instskip(SKIP_1) | instid1(VALU_DEP_1)
	v_fma_f64 v[6:7], v[0:1], -0.5, v[48:49]
	v_add_f64_e32 v[0:1], v[82:83], v[86:87]
	v_fma_f64 v[10:11], v[0:1], -0.5, v[50:51]
	v_add_f64_e32 v[0:1], v[50:51], v[82:83]
	s_delay_alu instid0(VALU_DEP_1)
	v_add_f64_e32 v[2:3], v[0:1], v[86:87]
	v_add_f64_e32 v[0:1], v[4:5], v[84:85]
	v_fma_f64 v[4:5], v[8:9], s[0:1], v[6:7]
	v_fma_f64 v[8:9], v[8:9], s[2:3], v[6:7]
	v_fma_f64 v[6:7], v[12:13], s[2:3], v[10:11]
	v_fma_f64 v[10:11], v[12:13], s[0:1], v[10:11]
	;; [unrolled: 19-line block ×3, first 2 shown]
	ds_store_b128 v113, v[0:3] offset:5712
	ds_store_b128 v113, v[4:7] offset:5984
	;; [unrolled: 1-line block ×3, first 2 shown]
	global_wb scope:SCOPE_SE
	s_wait_dscnt 0x0
	s_barrier_signal -1
	s_barrier_wait -1
	global_inv scope:SCOPE_SE
	s_clause 0x6
	scratch_load_b128 v[6:9], off, off offset:532 th:TH_LOAD_LU
	scratch_load_b128 v[56:59], off, off offset:564 th:TH_LOAD_LU
	;; [unrolled: 1-line block ×7, first 2 shown]
	ds_load_b128 v[2:5], v164 offset:816
	s_clause 0x1
	scratch_load_b128 v[22:25], off, off offset:660 th:TH_LOAD_LU
	scratch_load_b128 v[26:29], off, off offset:644 th:TH_LOAD_LU
	s_mov_b32 s0, 0x667f3bcd
	s_mov_b32 s1, 0xbfe6a09e
	;; [unrolled: 1-line block ×3, first 2 shown]
	s_wait_alu 0xfffe
	s_mov_b32 s2, s0
	s_clause 0x4
	scratch_load_b128 v[46:49], off, off offset:852 th:TH_LOAD_LU
	scratch_load_b128 v[88:91], off, off offset:804 th:TH_LOAD_LU
	;; [unrolled: 1-line block ×5, first 2 shown]
	s_wait_loadcnt_dscnt 0xd00
	v_mul_f64_e32 v[0:1], v[8:9], v[4:5]
	s_delay_alu instid0(VALU_DEP_1) | instskip(SKIP_1) | instid1(VALU_DEP_1)
	v_fma_f64 v[0:1], v[6:7], v[2:3], v[0:1]
	v_mul_f64_e32 v[2:3], v[8:9], v[2:3]
	v_fma_f64 v[2:3], v[6:7], v[4:5], -v[2:3]
	ds_load_b128 v[6:9], v164 offset:1632
	s_wait_loadcnt_dscnt 0xb00
	v_mul_f64_e32 v[4:5], v[12:13], v[8:9]
	s_delay_alu instid0(VALU_DEP_1) | instskip(SKIP_1) | instid1(VALU_DEP_1)
	v_fma_f64 v[4:5], v[10:11], v[6:7], v[4:5]
	v_mul_f64_e32 v[6:7], v[12:13], v[6:7]
	v_fma_f64 v[8:9], v[10:11], v[8:9], -v[6:7]
	ds_load_b128 v[10:13], v164 offset:2448
	;; [unrolled: 7-line block ×5, first 2 shown]
	s_wait_loadcnt_dscnt 0x500
	v_mul_f64_e32 v[20:21], v[28:29], v[24:25]
	s_delay_alu instid0(VALU_DEP_1) | instskip(SKIP_1) | instid1(VALU_DEP_2)
	v_fma_f64 v[20:21], v[26:27], v[22:23], v[20:21]
	v_mul_f64_e32 v[22:23], v[28:29], v[22:23]
	v_add_f64_e64 v[20:21], v[4:5], -v[20:21]
	s_delay_alu instid0(VALU_DEP_2)
	v_fma_f64 v[22:23], v[26:27], v[24:25], -v[22:23]
	ds_load_b128 v[26:29], v164 offset:5712
	s_wait_dscnt 0x0
	v_mul_f64_e32 v[24:25], v[32:33], v[28:29]
	v_fma_f64 v[4:5], v[4:5], 2.0, -v[20:21]
	v_add_f64_e64 v[22:23], v[8:9], -v[22:23]
	s_delay_alu instid0(VALU_DEP_3) | instskip(SKIP_1) | instid1(VALU_DEP_3)
	v_fma_f64 v[24:25], v[30:31], v[26:27], v[24:25]
	v_mul_f64_e32 v[26:27], v[32:33], v[26:27]
	v_fma_f64 v[8:9], v[8:9], 2.0, -v[22:23]
	s_delay_alu instid0(VALU_DEP_3) | instskip(NEXT) | instid1(VALU_DEP_3)
	v_add_f64_e64 v[24:25], v[6:7], -v[24:25]
	v_fma_f64 v[26:27], v[30:31], v[28:29], -v[26:27]
	ds_load_b128 v[28:31], v164 offset:1088
	s_wait_dscnt 0x0
	v_mul_f64_e32 v[32:33], v[36:37], v[30:31]
	v_add_f64_e64 v[26:27], v[10:11], -v[26:27]
	s_delay_alu instid0(VALU_DEP_2) | instskip(SKIP_1) | instid1(VALU_DEP_1)
	v_fma_f64 v[64:65], v[34:35], v[28:29], v[32:33]
	v_mul_f64_e32 v[28:29], v[36:37], v[28:29]
	v_fma_f64 v[66:67], v[34:35], v[30:31], -v[28:29]
	scratch_load_b128 v[34:37], off, off offset:772 th:TH_LOAD_LU ; 16-byte Folded Reload
	ds_load_b128 v[28:31], v164 offset:1904
	s_wait_loadcnt_dscnt 0x0
	v_mul_f64_e32 v[32:33], v[36:37], v[30:31]
	s_delay_alu instid0(VALU_DEP_1) | instskip(SKIP_1) | instid1(VALU_DEP_1)
	v_fma_f64 v[68:69], v[34:35], v[28:29], v[32:33]
	v_mul_f64_e32 v[28:29], v[36:37], v[28:29]
	v_fma_f64 v[70:71], v[34:35], v[30:31], -v[28:29]
	scratch_load_b128 v[34:37], off, off offset:788 th:TH_LOAD_LU ; 16-byte Folded Reload
	ds_load_b128 v[28:31], v164 offset:2720
	s_wait_loadcnt_dscnt 0x0
	v_mul_f64_e32 v[32:33], v[36:37], v[30:31]
	s_delay_alu instid0(VALU_DEP_1) | instskip(SKIP_1) | instid1(VALU_DEP_1)
	;; [unrolled: 8-line block ×3, first 2 shown]
	v_fma_f64 v[60:61], v[34:35], v[28:29], v[32:33]
	v_mul_f64_e32 v[28:29], v[36:37], v[28:29]
	v_fma_f64 v[62:63], v[34:35], v[30:31], -v[28:29]
	scratch_load_b128 v[34:37], off, off offset:612 th:TH_LOAD_LU ; 16-byte Folded Reload
	ds_load_b128 v[28:31], v164 offset:5168
	s_wait_loadcnt_dscnt 0x0
	v_mul_f64_e32 v[32:33], v[36:37], v[30:31]
	s_delay_alu instid0(VALU_DEP_1) | instskip(SKIP_1) | instid1(VALU_DEP_2)
	v_fma_f64 v[76:77], v[34:35], v[28:29], v[32:33]
	v_mul_f64_e32 v[28:29], v[36:37], v[28:29]
	v_add_f64_e64 v[76:77], v[68:69], -v[76:77]
	s_delay_alu instid0(VALU_DEP_2) | instskip(SKIP_4) | instid1(VALU_DEP_1)
	v_fma_f64 v[78:79], v[34:35], v[30:31], -v[28:29]
	scratch_load_b128 v[34:37], off, off offset:548 th:TH_LOAD_LU ; 16-byte Folded Reload
	ds_load_b128 v[28:31], v164 offset:4352
	v_fma_f64 v[68:69], v[68:69], 2.0, -v[76:77]
	v_add_f64_e64 v[78:79], v[70:71], -v[78:79]
	v_fma_f64 v[70:71], v[70:71], 2.0, -v[78:79]
	s_wait_loadcnt_dscnt 0x0
	v_mul_f64_e32 v[32:33], v[36:37], v[30:31]
	s_delay_alu instid0(VALU_DEP_1) | instskip(SKIP_1) | instid1(VALU_DEP_2)
	v_fma_f64 v[80:81], v[34:35], v[28:29], v[32:33]
	v_mul_f64_e32 v[28:29], v[36:37], v[28:29]
	v_add_f64_e64 v[80:81], v[64:65], -v[80:81]
	s_delay_alu instid0(VALU_DEP_2)
	v_fma_f64 v[82:83], v[34:35], v[30:31], -v[28:29]
	scratch_load_b128 v[34:37], off, off offset:580 th:TH_LOAD_LU ; 16-byte Folded Reload
	ds_load_b128 v[28:31], v164 offset:5984
	v_add_f64_e64 v[82:83], v[66:67], -v[82:83]
	s_wait_loadcnt_dscnt 0x0
	v_mul_f64_e32 v[32:33], v[36:37], v[30:31]
	s_delay_alu instid0(VALU_DEP_1) | instskip(SKIP_1) | instid1(VALU_DEP_2)
	v_fma_f64 v[84:85], v[34:35], v[28:29], v[32:33]
	v_mul_f64_e32 v[28:29], v[36:37], v[28:29]
	v_add_f64_e64 v[84:85], v[72:73], -v[84:85]
	s_delay_alu instid0(VALU_DEP_2) | instskip(SKIP_4) | instid1(VALU_DEP_1)
	v_fma_f64 v[86:87], v[34:35], v[30:31], -v[28:29]
	scratch_load_b128 v[34:37], off, off offset:596 th:TH_LOAD_LU ; 16-byte Folded Reload
	ds_load_b128 v[30:33], v164 offset:1360
	v_add_f64_e64 v[98:99], v[82:83], -v[84:85]
	v_add_f64_e64 v[86:87], v[74:75], -v[86:87]
	v_add_f64_e32 v[96:97], v[80:81], v[86:87]
	s_wait_loadcnt_dscnt 0x0
	v_mul_f64_e32 v[28:29], v[36:37], v[32:33]
	s_delay_alu instid0(VALU_DEP_1) | instskip(SKIP_1) | instid1(VALU_DEP_1)
	v_fma_f64 v[28:29], v[34:35], v[30:31], v[28:29]
	v_mul_f64_e32 v[30:31], v[36:37], v[30:31]
	v_fma_f64 v[30:31], v[34:35], v[32:33], -v[30:31]
	ds_load_b128 v[34:37], v164 offset:2176
	s_wait_dscnt 0x0
	v_mul_f64_e32 v[32:33], v[40:41], v[36:37]
	s_delay_alu instid0(VALU_DEP_1) | instskip(SKIP_1) | instid1(VALU_DEP_1)
	v_fma_f64 v[32:33], v[38:39], v[34:35], v[32:33]
	v_mul_f64_e32 v[34:35], v[40:41], v[34:35]
	v_fma_f64 v[34:35], v[38:39], v[36:37], -v[34:35]
	ds_load_b128 v[36:39], v164 offset:3808
	s_wait_dscnt 0x0
	;; [unrolled: 7-line block ×4, first 2 shown]
	v_mul_f64_e32 v[48:49], v[52:53], v[38:39]
	s_delay_alu instid0(VALU_DEP_1)
	v_fma_f64 v[48:49], v[50:51], v[36:37], v[48:49]
	v_mul_f64_e32 v[36:37], v[52:53], v[36:37]
	ds_load_b128 v[52:55], v164 offset:2992
	v_add_f64_e64 v[48:49], v[28:29], -v[48:49]
	v_fma_f64 v[50:51], v[50:51], v[38:39], -v[36:37]
	s_wait_dscnt 0x0
	v_mul_f64_e32 v[36:37], v[58:59], v[54:55]
	v_mul_f64_e32 v[38:39], v[58:59], v[52:53]
	s_delay_alu instid0(VALU_DEP_3) | instskip(NEXT) | instid1(VALU_DEP_3)
	v_add_f64_e64 v[50:51], v[30:31], -v[50:51]
	v_fma_f64 v[36:37], v[56:57], v[52:53], v[36:37]
	s_delay_alu instid0(VALU_DEP_3) | instskip(SKIP_3) | instid1(VALU_DEP_1)
	v_fma_f64 v[38:39], v[56:57], v[54:55], -v[38:39]
	ds_load_b128 v[54:57], v164 offset:6256
	s_wait_dscnt 0x0
	v_mul_f64_e32 v[52:53], v[90:91], v[56:57]
	v_fma_f64 v[52:53], v[88:89], v[54:55], v[52:53]
	v_mul_f64_e32 v[54:55], v[90:91], v[54:55]
	s_delay_alu instid0(VALU_DEP_2) | instskip(NEXT) | instid1(VALU_DEP_2)
	v_add_f64_e64 v[52:53], v[36:37], -v[52:53]
	v_fma_f64 v[54:55], v[88:89], v[56:57], -v[54:55]
	ds_load_b128 v[56:59], v164 offset:272
	s_wait_dscnt 0x0
	v_add_f64_e64 v[60:61], v[56:57], -v[60:61]
	v_add_f64_e64 v[62:63], v[58:59], -v[62:63]
	;; [unrolled: 1-line block ×3, first 2 shown]
	s_delay_alu instid0(VALU_DEP_3) | instskip(NEXT) | instid1(VALU_DEP_3)
	v_fma_f64 v[88:89], v[56:57], 2.0, -v[60:61]
	v_fma_f64 v[90:91], v[58:59], 2.0, -v[62:63]
	v_add_f64_e32 v[92:93], v[60:61], v[78:79]
	v_add_f64_e64 v[94:95], v[62:63], -v[76:77]
	v_fma_f64 v[76:77], v[64:65], 2.0, -v[80:81]
	v_fma_f64 v[78:79], v[66:67], 2.0, -v[82:83]
	;; [unrolled: 1-line block ×4, first 2 shown]
	v_add_f64_e64 v[72:73], v[88:89], -v[68:69]
	v_add_f64_e64 v[74:75], v[90:91], -v[70:71]
	s_wait_alu 0xfffe
	v_fma_f64 v[56:57], v[96:97], s[2:3], v[92:93]
	v_fma_f64 v[58:59], v[98:99], s[2:3], v[94:95]
	v_fma_f64 v[100:101], v[60:61], 2.0, -v[92:93]
	v_fma_f64 v[102:103], v[62:63], 2.0, -v[94:95]
	v_fma_f64 v[62:63], v[80:81], 2.0, -v[96:97]
	v_fma_f64 v[60:61], v[82:83], 2.0, -v[98:99]
	v_add_f64_e64 v[80:81], v[78:79], -v[64:65]
	v_add_f64_e64 v[82:83], v[76:77], -v[66:67]
	v_fma_f64 v[56:57], v[98:99], s[2:3], v[56:57]
	v_fma_f64 v[58:59], v[96:97], s[0:1], v[58:59]
	;; [unrolled: 1-line block ×4, first 2 shown]
	v_add_f64_e32 v[64:65], v[72:73], v[80:81]
	v_add_f64_e64 v[66:67], v[74:75], -v[82:83]
	s_delay_alu instid0(VALU_DEP_4) | instskip(NEXT) | instid1(VALU_DEP_4)
	v_fma_f64 v[60:61], v[60:61], s[2:3], v[96:97]
	v_fma_f64 v[62:63], v[62:63], s[0:1], v[98:99]
	s_delay_alu instid0(VALU_DEP_4) | instskip(NEXT) | instid1(VALU_DEP_4)
	v_fma_f64 v[68:69], v[72:73], 2.0, -v[64:65]
	v_fma_f64 v[70:71], v[74:75], 2.0, -v[66:67]
	ds_store_b128 v105, v[64:67] offset:4896
	v_fma_f64 v[64:65], v[92:93], 2.0, -v[56:57]
	v_fma_f64 v[66:67], v[94:95], 2.0, -v[58:59]
	ds_store_b128 v105, v[56:59] offset:5712
	ds_store_b128 v105, v[64:67] offset:2448
	v_fma_f64 v[64:65], v[88:89], 2.0, -v[72:73]
	v_fma_f64 v[66:67], v[90:91], 2.0, -v[74:75]
	;; [unrolled: 1-line block ×4, first 2 shown]
	s_delay_alu instid0(VALU_DEP_2) | instskip(NEXT) | instid1(VALU_DEP_2)
	v_add_f64_e64 v[56:57], v[64:65], -v[56:57]
	v_add_f64_e64 v[58:59], v[66:67], -v[58:59]
	s_delay_alu instid0(VALU_DEP_2) | instskip(NEXT) | instid1(VALU_DEP_2)
	v_fma_f64 v[64:65], v[64:65], 2.0, -v[56:57]
	v_fma_f64 v[66:67], v[66:67], 2.0, -v[58:59]
	ds_store_b128 v105, v[56:59] offset:3264
	v_fma_f64 v[56:57], v[100:101], 2.0, -v[60:61]
	v_fma_f64 v[58:59], v[102:103], 2.0, -v[62:63]
	ds_store_b128 v105, v[60:63] offset:4080
	ds_store_b128 v105, v[68:71] offset:1632
	;; [unrolled: 1-line block ×3, first 2 shown]
	ds_load_b128 v[56:59], v164 offset:544
	v_add_f64_e64 v[68:69], v[32:33], -v[44:45]
	v_add_f64_e64 v[70:71], v[34:35], -v[46:47]
	;; [unrolled: 1-line block ×3, first 2 shown]
	v_add_f64_e32 v[44:45], v[48:49], v[54:55]
	s_wait_dscnt 0x0
	v_add_f64_e64 v[62:63], v[58:59], -v[42:43]
	v_add_f64_e64 v[60:61], v[56:57], -v[40:41]
	v_fma_f64 v[32:33], v[32:33], 2.0, -v[68:69]
	v_fma_f64 v[34:35], v[34:35], 2.0, -v[70:71]
	;; [unrolled: 1-line block ×5, first 2 shown]
	v_add_f64_e64 v[74:75], v[62:63], -v[68:69]
	v_add_f64_e32 v[72:73], v[60:61], v[70:71]
	v_fma_f64 v[56:57], v[56:57], 2.0, -v[60:61]
	v_fma_f64 v[58:59], v[58:59], 2.0, -v[62:63]
	s_delay_alu instid0(VALU_DEP_4) | instskip(NEXT) | instid1(VALU_DEP_4)
	v_fma_f64 v[42:43], v[46:47], s[2:3], v[74:75]
	v_fma_f64 v[40:41], v[44:45], s[2:3], v[72:73]
	v_fma_f64 v[60:61], v[60:61], 2.0, -v[72:73]
	s_delay_alu instid0(VALU_DEP_4)
	v_add_f64_e64 v[38:39], v[58:59], -v[34:35]
	v_fma_f64 v[62:63], v[62:63], 2.0, -v[74:75]
	v_fma_f64 v[42:43], v[44:45], s[0:1], v[42:43]
	v_fma_f64 v[44:45], v[50:51], 2.0, -v[46:47]
	v_fma_f64 v[50:51], v[30:31], 2.0, -v[50:51]
	;; [unrolled: 1-line block ×3, first 2 shown]
	v_add_f64_e64 v[36:37], v[56:57], -v[32:33]
	v_fma_f64 v[40:41], v[46:47], s[2:3], v[40:41]
	v_fma_f64 v[46:47], v[76:77], s[0:1], v[60:61]
	;; [unrolled: 1-line block ×3, first 2 shown]
	v_add_f64_e64 v[52:53], v[50:51], -v[28:29]
	v_add_f64_e64 v[54:55], v[48:49], -v[30:31]
	s_delay_alu instid0(VALU_DEP_4) | instskip(NEXT) | instid1(VALU_DEP_4)
	v_fma_f64 v[44:45], v[44:45], s[2:3], v[46:47]
	v_fma_f64 v[46:47], v[76:77], s[0:1], v[78:79]
	s_delay_alu instid0(VALU_DEP_4) | instskip(NEXT) | instid1(VALU_DEP_4)
	v_add_f64_e32 v[28:29], v[36:37], v[52:53]
	v_add_f64_e64 v[30:31], v[38:39], -v[54:55]
	s_delay_alu instid0(VALU_DEP_2) | instskip(NEXT) | instid1(VALU_DEP_2)
	v_fma_f64 v[32:33], v[36:37], 2.0, -v[28:29]
	v_fma_f64 v[34:35], v[38:39], 2.0, -v[30:31]
	ds_store_b128 v104, v[28:31] offset:4896
	v_fma_f64 v[28:29], v[72:73], 2.0, -v[40:41]
	v_fma_f64 v[30:31], v[74:75], 2.0, -v[42:43]
	ds_store_b128 v104, v[40:43] offset:5712
	ds_store_b128 v104, v[32:35] offset:1632
	;; [unrolled: 1-line block ×3, first 2 shown]
	v_fma_f64 v[32:33], v[56:57], 2.0, -v[36:37]
	v_fma_f64 v[34:35], v[58:59], 2.0, -v[38:39]
	;; [unrolled: 1-line block ×4, first 2 shown]
	v_add_f64_e64 v[40:41], v[0:1], -v[16:17]
	v_add_f64_e64 v[42:43], v[2:3], -v[18:19]
	s_delay_alu instid0(VALU_DEP_4) | instskip(NEXT) | instid1(VALU_DEP_4)
	v_add_f64_e64 v[28:29], v[32:33], -v[28:29]
	v_add_f64_e64 v[30:31], v[34:35], -v[30:31]
	s_delay_alu instid0(VALU_DEP_4) | instskip(NEXT) | instid1(VALU_DEP_4)
	v_add_f64_e32 v[16:17], v[40:41], v[26:27]
	v_add_f64_e64 v[18:19], v[42:43], -v[24:25]
	s_delay_alu instid0(VALU_DEP_4) | instskip(NEXT) | instid1(VALU_DEP_4)
	v_fma_f64 v[32:33], v[32:33], 2.0, -v[28:29]
	v_fma_f64 v[34:35], v[34:35], 2.0, -v[30:31]
	ds_store_b128 v104, v[28:31] offset:3264
	v_fma_f64 v[28:29], v[60:61], 2.0, -v[44:45]
	v_fma_f64 v[30:31], v[62:63], 2.0, -v[46:47]
	ds_store_b128 v104, v[44:47] offset:4080
	ds_store_b128 v104, v[28:31] offset:816
	ds_load_b128 v[28:31], v164
	v_fma_f64 v[48:49], v[40:41], 2.0, -v[16:17]
	s_wait_dscnt 0x0
	v_add_f64_e64 v[36:37], v[28:29], -v[12:13]
	v_add_f64_e64 v[38:39], v[30:31], -v[14:15]
	s_delay_alu instid0(VALU_DEP_2) | instskip(NEXT) | instid1(VALU_DEP_2)
	v_fma_f64 v[28:29], v[28:29], 2.0, -v[36:37]
	v_fma_f64 v[30:31], v[30:31], 2.0, -v[38:39]
	v_add_f64_e32 v[44:45], v[36:37], v[22:23]
	v_add_f64_e64 v[46:47], v[38:39], -v[20:21]
	v_fma_f64 v[20:21], v[0:1], 2.0, -v[40:41]
	v_fma_f64 v[22:23], v[2:3], 2.0, -v[42:43]
	;; [unrolled: 1-line block ×4, first 2 shown]
	v_add_f64_e64 v[10:11], v[28:29], -v[4:5]
	v_add_f64_e64 v[8:9], v[30:31], -v[8:9]
	v_fma_f64 v[12:13], v[16:17], s[2:3], v[44:45]
	v_fma_f64 v[14:15], v[18:19], s[2:3], v[46:47]
	v_fma_f64 v[36:37], v[36:37], 2.0, -v[44:45]
	v_fma_f64 v[38:39], v[38:39], 2.0, -v[46:47]
	v_add_f64_e64 v[24:25], v[22:23], -v[0:1]
	v_add_f64_e64 v[26:27], v[20:21], -v[2:3]
	v_fma_f64 v[12:13], v[18:19], s[2:3], v[12:13]
	v_fma_f64 v[14:15], v[16:17], s[0:1], v[14:15]
	v_fma_f64 v[16:17], v[42:43], 2.0, -v[18:19]
	v_fma_f64 v[18:19], v[48:49], s[0:1], v[36:37]
	v_add_f64_e32 v[0:1], v[10:11], v[24:25]
	v_add_f64_e64 v[2:3], v[8:9], -v[26:27]
	s_delay_alu instid0(VALU_DEP_4) | instskip(NEXT) | instid1(VALU_DEP_4)
	v_fma_f64 v[50:51], v[16:17], s[0:1], v[38:39]
	v_fma_f64 v[16:17], v[16:17], s[2:3], v[18:19]
	s_delay_alu instid0(VALU_DEP_4) | instskip(NEXT) | instid1(VALU_DEP_4)
	v_fma_f64 v[4:5], v[10:11], 2.0, -v[0:1]
	v_fma_f64 v[6:7], v[8:9], 2.0, -v[2:3]
	ds_store_b128 v164, v[0:3] offset:4896
	v_fma_f64 v[0:1], v[44:45], 2.0, -v[12:13]
	v_fma_f64 v[2:3], v[46:47], 2.0, -v[14:15]
	ds_store_b128 v164, v[12:15] offset:5712
	ds_store_b128 v164, v[4:7] offset:1632
	;; [unrolled: 1-line block ×3, first 2 shown]
	v_fma_f64 v[4:5], v[28:29], 2.0, -v[10:11]
	v_fma_f64 v[6:7], v[30:31], 2.0, -v[8:9]
	;; [unrolled: 1-line block ×4, first 2 shown]
	v_fma_f64 v[18:19], v[48:49], s[0:1], v[50:51]
	s_mov_b32 s2, 0x14141414
	s_mov_b32 s3, 0x3f641414
	s_delay_alu instid0(VALU_DEP_3) | instskip(NEXT) | instid1(VALU_DEP_3)
	v_add_f64_e64 v[0:1], v[4:5], -v[0:1]
	v_add_f64_e64 v[2:3], v[6:7], -v[2:3]
	s_delay_alu instid0(VALU_DEP_2) | instskip(NEXT) | instid1(VALU_DEP_2)
	v_fma_f64 v[4:5], v[4:5], 2.0, -v[0:1]
	v_fma_f64 v[6:7], v[6:7], 2.0, -v[2:3]
	ds_store_b128 v164, v[0:3] offset:3264
	v_fma_f64 v[0:1], v[36:37], 2.0, -v[16:17]
	v_fma_f64 v[2:3], v[38:39], 2.0, -v[18:19]
	ds_store_b128 v164, v[16:19] offset:4080
	ds_store_b128 v164, v[4:7]
	ds_store_b128 v164, v[64:67] offset:272
	ds_store_b128 v164, v[0:3] offset:816
	;; [unrolled: 1-line block ×3, first 2 shown]
	global_wb scope:SCOPE_SE
	s_wait_dscnt 0x0
	s_barrier_signal -1
	s_barrier_wait -1
	global_inv scope:SCOPE_SE
	s_clause 0x3
	scratch_load_b128 v[6:9], off, off offset:404 th:TH_LOAD_LU
	scratch_load_b128 v[10:13], off, off offset:388 th:TH_LOAD_LU
	;; [unrolled: 1-line block ×4, first 2 shown]
	ds_load_b128 v[0:3], v164
	s_clause 0xc
	scratch_load_b128 v[22:25], off, off offset:340 th:TH_LOAD_LU
	scratch_load_b128 v[30:33], off, off offset:324 th:TH_LOAD_LU
	scratch_load_b128 v[26:29], off, off offset:308 th:TH_LOAD_LU
	scratch_load_b128 v[46:49], off, off offset:292 th:TH_LOAD_LU
	scratch_load_b128 v[34:37], off, off offset:164 th:TH_LOAD_LU
	scratch_load_b128 v[66:69], off, off offset:180 th:TH_LOAD_LU
	scratch_load_b128 v[38:41], off, off offset:260 th:TH_LOAD_LU
	scratch_load_b128 v[42:45], off, off offset:276 th:TH_LOAD_LU
	scratch_load_b128 v[50:53], off, off offset:244 th:TH_LOAD_LU
	scratch_load_b128 v[58:61], off, off offset:228 th:TH_LOAD_LU
	scratch_load_b128 v[54:57], off, off offset:196 th:TH_LOAD_LU
	scratch_load_b128 v[62:65], off, off offset:212 th:TH_LOAD_LU
	scratch_load_b128 v[70:73], off, off offset:148 th:TH_LOAD_LU
	s_wait_loadcnt_dscnt 0x1000
	v_mul_f64_e32 v[4:5], v[8:9], v[2:3]
	s_delay_alu instid0(VALU_DEP_1) | instskip(SKIP_1) | instid1(VALU_DEP_1)
	v_fma_f64 v[4:5], v[6:7], v[0:1], v[4:5]
	v_mul_f64_e32 v[0:1], v[8:9], v[0:1]
	v_fma_f64 v[6:7], v[6:7], v[2:3], -v[0:1]
	ds_load_b128 v[0:3], v164 offset:384
	s_wait_loadcnt_dscnt 0xf00
	v_mul_f64_e32 v[8:9], v[12:13], v[2:3]
	s_delay_alu instid0(VALU_DEP_1) | instskip(SKIP_1) | instid1(VALU_DEP_1)
	v_fma_f64 v[8:9], v[10:11], v[0:1], v[8:9]
	v_mul_f64_e32 v[0:1], v[12:13], v[0:1]
	v_fma_f64 v[10:11], v[10:11], v[2:3], -v[0:1]
	ds_load_b128 v[0:3], v164 offset:768
	s_wait_loadcnt_dscnt 0xe00
	v_mul_f64_e32 v[12:13], v[16:17], v[2:3]
	s_delay_alu instid0(VALU_DEP_1) | instskip(SKIP_1) | instid1(VALU_DEP_1)
	v_fma_f64 v[12:13], v[14:15], v[0:1], v[12:13]
	v_mul_f64_e32 v[0:1], v[16:17], v[0:1]
	v_fma_f64 v[14:15], v[14:15], v[2:3], -v[0:1]
	ds_load_b128 v[0:3], v164 offset:1152
	s_wait_loadcnt_dscnt 0xd00
	v_mul_f64_e32 v[16:17], v[20:21], v[2:3]
	s_delay_alu instid0(VALU_DEP_1) | instskip(SKIP_1) | instid1(VALU_DEP_1)
	v_fma_f64 v[16:17], v[18:19], v[0:1], v[16:17]
	v_mul_f64_e32 v[0:1], v[20:21], v[0:1]
	v_fma_f64 v[18:19], v[18:19], v[2:3], -v[0:1]
	ds_load_b128 v[0:3], v164 offset:1536
	s_wait_loadcnt_dscnt 0xc00
	v_mul_f64_e32 v[20:21], v[24:25], v[2:3]
	s_delay_alu instid0(VALU_DEP_1) | instskip(SKIP_1) | instid1(VALU_DEP_1)
	v_fma_f64 v[20:21], v[22:23], v[0:1], v[20:21]
	v_mul_f64_e32 v[0:1], v[24:25], v[0:1]
	v_fma_f64 v[22:23], v[22:23], v[2:3], -v[0:1]
	ds_load_b128 v[0:3], v164 offset:1920
	s_wait_loadcnt_dscnt 0xa00
	v_mul_f64_e32 v[24:25], v[28:29], v[2:3]
	s_delay_alu instid0(VALU_DEP_1) | instskip(SKIP_1) | instid1(VALU_DEP_1)
	v_fma_f64 v[24:25], v[26:27], v[0:1], v[24:25]
	v_mul_f64_e32 v[0:1], v[28:29], v[0:1]
	v_fma_f64 v[26:27], v[26:27], v[2:3], -v[0:1]
	ds_load_b128 v[0:3], v164 offset:2304
	s_wait_dscnt 0x0
	v_mul_f64_e32 v[28:29], v[32:33], v[2:3]
	s_delay_alu instid0(VALU_DEP_1) | instskip(SKIP_1) | instid1(VALU_DEP_1)
	v_fma_f64 v[28:29], v[30:31], v[0:1], v[28:29]
	v_mul_f64_e32 v[0:1], v[32:33], v[0:1]
	v_fma_f64 v[30:31], v[30:31], v[2:3], -v[0:1]
	ds_load_b128 v[0:3], v164 offset:2688
	s_wait_loadcnt_dscnt 0x800
	v_mul_f64_e32 v[32:33], v[36:37], v[2:3]
	s_delay_alu instid0(VALU_DEP_1) | instskip(SKIP_1) | instid1(VALU_DEP_1)
	v_fma_f64 v[32:33], v[34:35], v[0:1], v[32:33]
	v_mul_f64_e32 v[0:1], v[36:37], v[0:1]
	v_fma_f64 v[34:35], v[34:35], v[2:3], -v[0:1]
	ds_load_b128 v[0:3], v164 offset:3072
	s_wait_loadcnt_dscnt 0x600
	;; [unrolled: 7-line block ×3, first 2 shown]
	v_mul_f64_e32 v[40:41], v[44:45], v[2:3]
	s_delay_alu instid0(VALU_DEP_1) | instskip(SKIP_1) | instid1(VALU_DEP_1)
	v_fma_f64 v[40:41], v[42:43], v[0:1], v[40:41]
	v_mul_f64_e32 v[0:1], v[44:45], v[0:1]
	v_fma_f64 v[42:43], v[42:43], v[2:3], -v[0:1]
	ds_load_b128 v[0:3], v164 offset:3840
	s_wait_dscnt 0x0
	v_mul_f64_e32 v[44:45], v[48:49], v[2:3]
	s_delay_alu instid0(VALU_DEP_1) | instskip(SKIP_1) | instid1(VALU_DEP_1)
	v_fma_f64 v[44:45], v[46:47], v[0:1], v[44:45]
	v_mul_f64_e32 v[0:1], v[48:49], v[0:1]
	v_fma_f64 v[46:47], v[46:47], v[2:3], -v[0:1]
	ds_load_b128 v[0:3], v164 offset:4224
	s_wait_loadcnt_dscnt 0x400
	v_mul_f64_e32 v[48:49], v[52:53], v[2:3]
	s_delay_alu instid0(VALU_DEP_1) | instskip(SKIP_1) | instid1(VALU_DEP_1)
	v_fma_f64 v[48:49], v[50:51], v[0:1], v[48:49]
	v_mul_f64_e32 v[0:1], v[52:53], v[0:1]
	v_fma_f64 v[50:51], v[50:51], v[2:3], -v[0:1]
	ds_load_b128 v[0:3], v164 offset:4608
	s_wait_loadcnt_dscnt 0x200
	v_mul_f64_e32 v[52:53], v[56:57], v[2:3]
	s_delay_alu instid0(VALU_DEP_1) | instskip(SKIP_1) | instid1(VALU_DEP_1)
	v_fma_f64 v[52:53], v[54:55], v[0:1], v[52:53]
	v_mul_f64_e32 v[0:1], v[56:57], v[0:1]
	v_fma_f64 v[54:55], v[54:55], v[2:3], -v[0:1]
	ds_load_b128 v[0:3], v164 offset:4992
	s_wait_dscnt 0x0
	v_mul_f64_e32 v[56:57], v[60:61], v[2:3]
	s_delay_alu instid0(VALU_DEP_1) | instskip(SKIP_1) | instid1(VALU_DEP_1)
	v_fma_f64 v[56:57], v[58:59], v[0:1], v[56:57]
	v_mul_f64_e32 v[0:1], v[60:61], v[0:1]
	v_fma_f64 v[58:59], v[58:59], v[2:3], -v[0:1]
	ds_load_b128 v[0:3], v164 offset:5376
	s_wait_loadcnt_dscnt 0x100
	v_mul_f64_e32 v[60:61], v[64:65], v[2:3]
	s_delay_alu instid0(VALU_DEP_1) | instskip(SKIP_1) | instid1(VALU_DEP_1)
	v_fma_f64 v[60:61], v[62:63], v[0:1], v[60:61]
	v_mul_f64_e32 v[0:1], v[64:65], v[0:1]
	v_fma_f64 v[62:63], v[62:63], v[2:3], -v[0:1]
	ds_load_b128 v[0:3], v164 offset:5760
	s_wait_dscnt 0x0
	v_mul_f64_e32 v[64:65], v[68:69], v[2:3]
	s_delay_alu instid0(VALU_DEP_1) | instskip(SKIP_1) | instid1(VALU_DEP_1)
	v_fma_f64 v[64:65], v[66:67], v[0:1], v[64:65]
	v_mul_f64_e32 v[0:1], v[68:69], v[0:1]
	v_fma_f64 v[66:67], v[66:67], v[2:3], -v[0:1]
	scratch_load_b64 v[0:1], off, off offset:124 th:TH_LOAD_LU ; 8-byte Folded Reload
	s_wait_alu 0xfffe
	v_mul_f64_e32 v[2:3], s[2:3], v[6:7]
	s_wait_loadcnt 0x0
	v_mov_b32_e32 v1, v0
	s_delay_alu instid0(VALU_DEP_1) | instskip(NEXT) | instid1(VALU_DEP_1)
	v_mad_co_u64_u32 v[68:69], null, s6, v1, 0
	v_mov_b32_e32 v0, v69
	s_delay_alu instid0(VALU_DEP_1) | instskip(NEXT) | instid1(VALU_DEP_1)
	v_mad_co_u64_u32 v[0:1], null, s7, v1, v[0:1]
	v_mov_b32_e32 v69, v0
	v_mul_f64_e32 v[0:1], s[2:3], v[4:5]
	v_mad_co_u64_u32 v[4:5], null, s4, v108, 0
	s_delay_alu instid0(VALU_DEP_1) | instskip(NEXT) | instid1(VALU_DEP_4)
	v_mad_co_u64_u32 v[5:6], null, s5, v108, v[5:6]
	v_lshlrev_b64_e32 v[6:7], 4, v[68:69]
	s_delay_alu instid0(VALU_DEP_2) | instskip(NEXT) | instid1(VALU_DEP_2)
	v_lshlrev_b64_e32 v[4:5], 4, v[4:5]
	v_add_co_u32 v68, s0, s10, v6
	s_wait_alu 0xf1ff
	s_delay_alu instid0(VALU_DEP_3) | instskip(NEXT) | instid1(VALU_DEP_2)
	v_add_co_ci_u32_e64 v69, s0, s11, v7, s0
	v_add_co_u32 v4, s0, v68, v4
	s_wait_alu 0xf1ff
	s_delay_alu instid0(VALU_DEP_2)
	v_add_co_ci_u32_e64 v5, s0, v69, v5, s0
	s_mul_u64 s[0:1], s[4:5], 24
	s_wait_alu 0xfffe
	s_lshl_b64 s[6:7], s[0:1], 4
	global_store_b128 v[4:5], v[0:3], off
	v_mul_f64_e32 v[0:1], s[2:3], v[8:9]
	scratch_load_b32 v8, off, off offset:132 th:TH_LOAD_LU ; 4-byte Folded Reload
	v_mul_f64_e32 v[2:3], s[2:3], v[10:11]
	s_wait_alu 0xfffe
	v_add_co_u32 v4, s0, v4, s6
	s_wait_alu 0xf1ff
	v_add_co_ci_u32_e64 v5, s0, s7, v5, s0
	global_store_b128 v[4:5], v[0:3], off
	v_mul_f64_e32 v[0:1], s[2:3], v[12:13]
	v_mul_f64_e32 v[2:3], s[2:3], v[14:15]
	v_add_co_u32 v4, s0, v4, s6
	s_wait_alu 0xf1ff
	v_add_co_ci_u32_e64 v5, s0, s7, v5, s0
	v_mul_f64_e32 v[12:13], s[2:3], v[36:37]
	scratch_load_b32 v36, off, off offset:140 th:TH_LOAD_LU ; 4-byte Folded Reload
	v_mul_f64_e32 v[14:15], s[2:3], v[38:39]
	global_store_b128 v[4:5], v[0:3], off
	v_mul_f64_e32 v[0:1], s[2:3], v[16:17]
	v_mul_f64_e32 v[2:3], s[2:3], v[18:19]
	v_add_co_u32 v4, s0, v4, s6
	s_wait_alu 0xf1ff
	v_add_co_ci_u32_e64 v5, s0, s7, v5, s0
	v_mul_f64_e32 v[16:17], s[2:3], v[40:41]
	v_mul_f64_e32 v[18:19], s[2:3], v[42:43]
	global_store_b128 v[4:5], v[0:3], off
	v_mul_f64_e32 v[0:1], s[2:3], v[20:21]
	v_mul_f64_e32 v[2:3], s[2:3], v[22:23]
	;; [unrolled: 1-line block ×4, first 2 shown]
	s_wait_loadcnt 0x1
	v_mad_co_u64_u32 v[6:7], null, s4, v8, 0
	s_delay_alu instid0(VALU_DEP_1) | instskip(NEXT) | instid1(VALU_DEP_1)
	v_mad_co_u64_u32 v[7:8], null, s5, v8, v[7:8]
	v_lshlrev_b64_e32 v[6:7], 4, v[6:7]
	s_delay_alu instid0(VALU_DEP_1) | instskip(SKIP_1) | instid1(VALU_DEP_2)
	v_add_co_u32 v6, s0, v68, v6
	s_wait_alu 0xf1ff
	v_add_co_ci_u32_e64 v7, s0, v69, v7, s0
	v_add_co_u32 v8, s0, v4, s8
	s_wait_alu 0xf1ff
	v_add_co_ci_u32_e64 v9, s0, s9, v5, s0
	scratch_load_b32 v5, off, off offset:136 th:TH_LOAD_LU ; 4-byte Folded Reload
	global_store_b128 v[6:7], v[0:3], off
	v_mul_f64_e32 v[0:1], s[2:3], v[24:25]
	v_mul_f64_e32 v[2:3], s[2:3], v[26:27]
	;; [unrolled: 1-line block ×3, first 2 shown]
	v_add_co_u32 v26, s0, v8, s6
	s_wait_alu 0xf1ff
	v_add_co_ci_u32_e64 v27, s0, s7, v9, s0
	global_store_b128 v[8:9], v[0:3], off
	ds_load_b128 v[0:3], v164 offset:6144
	v_mul_f64_e32 v[8:9], s[2:3], v[32:33]
	s_wait_dscnt 0x0
	v_mul_f64_e32 v[30:31], v[72:73], v[0:1]
	s_wait_loadcnt 0x0
	v_mad_co_u64_u32 v[24:25], null, s4, v5, 0
	s_delay_alu instid0(VALU_DEP_1) | instskip(NEXT) | instid1(VALU_DEP_1)
	v_mov_b32_e32 v4, v25
	v_mad_co_u64_u32 v[10:11], null, s5, v5, v[4:5]
	v_mul_f64_e32 v[4:5], s[2:3], v[28:29]
	v_mul_f64_e32 v[28:29], v[72:73], v[2:3]
	s_delay_alu instid0(VALU_DEP_3)
	v_mov_b32_e32 v25, v10
	v_mul_f64_e32 v[10:11], s[2:3], v[34:35]
	global_store_b128 v[26:27], v[4:7], off
	v_lshlrev_b64_e32 v[4:5], 4, v[24:25]
	v_add_co_u32 v26, s0, v26, s6
	v_fma_f64 v[24:25], v[70:71], v[0:1], v[28:29]
	v_fma_f64 v[28:29], v[70:71], v[2:3], -v[30:31]
	s_wait_alu 0xf1ff
	v_add_co_ci_u32_e64 v27, s0, s7, v27, s0
	v_mad_co_u64_u32 v[30:31], null, s4, v36, 0
	v_add_co_u32 v32, s0, v68, v4
	s_wait_alu 0xf1ff
	v_add_co_ci_u32_e64 v33, s0, v69, v5, s0
	v_add_co_u32 v34, s0, v26, s8
	s_wait_alu 0xf1ff
	v_add_co_ci_u32_e64 v35, s0, s9, v27, s0
	v_mad_co_u64_u32 v[36:37], null, s5, v36, v[31:32]
	s_delay_alu instid0(VALU_DEP_3) | instskip(SKIP_1) | instid1(VALU_DEP_3)
	v_add_co_u32 v37, s0, v34, s6
	s_wait_alu 0xf1ff
	v_add_co_ci_u32_e64 v38, s0, s7, v35, s0
	global_store_b128 v[26:27], v[8:11], off
	global_store_b128 v[32:33], v[12:15], off
	;; [unrolled: 1-line block ×4, first 2 shown]
	scratch_load_b32 v32, off, off offset:144 th:TH_LOAD_LU ; 4-byte Folded Reload
	v_mul_f64_e32 v[0:1], s[2:3], v[48:49]
	v_mul_f64_e32 v[2:3], s[2:3], v[50:51]
	;; [unrolled: 1-line block ×10, first 2 shown]
	v_mov_b32_e32 v31, v36
	v_mul_f64_e32 v[20:21], s[2:3], v[24:25]
	v_mul_f64_e32 v[22:23], s[2:3], v[28:29]
	s_delay_alu instid0(VALU_DEP_3) | instskip(SKIP_3) | instid1(VALU_DEP_3)
	v_lshlrev_b64_e32 v[24:25], 4, v[30:31]
	v_add_co_u32 v28, s0, v37, s6
	s_wait_alu 0xf1ff
	v_add_co_ci_u32_e64 v29, s0, s7, v38, s0
	v_add_co_u32 v24, s0, v68, v24
	s_wait_alu 0xf1ff
	v_add_co_ci_u32_e64 v25, s0, v69, v25, s0
	global_store_b128 v[28:29], v[0:3], off
	global_store_b128 v[24:25], v[4:7], off
	v_add_co_u32 v2, s0, v28, s8
	s_wait_alu 0xf1ff
	v_add_co_ci_u32_e64 v3, s0, s9, v29, s0
	s_delay_alu instid0(VALU_DEP_2) | instskip(SKIP_1) | instid1(VALU_DEP_2)
	v_add_co_u32 v4, s0, v2, s6
	s_wait_alu 0xf1ff
	v_add_co_ci_u32_e64 v5, s0, s7, v3, s0
	s_delay_alu instid0(VALU_DEP_2) | instskip(SKIP_1) | instid1(VALU_DEP_2)
	v_add_co_u32 v0, s0, v4, s6
	s_wait_alu 0xf1ff
	v_add_co_ci_u32_e64 v1, s0, s7, v5, s0
	s_wait_loadcnt 0x0
	v_mad_co_u64_u32 v[26:27], null, s4, v32, 0
	s_delay_alu instid0(VALU_DEP_1) | instskip(NEXT) | instid1(VALU_DEP_1)
	v_mad_co_u64_u32 v[30:31], null, s5, v32, v[27:28]
	v_mov_b32_e32 v27, v30
	s_delay_alu instid0(VALU_DEP_1) | instskip(NEXT) | instid1(VALU_DEP_1)
	v_lshlrev_b64_e32 v[6:7], 4, v[26:27]
	v_add_co_u32 v6, s0, v68, v6
	s_wait_alu 0xf1ff
	s_delay_alu instid0(VALU_DEP_2)
	v_add_co_ci_u32_e64 v7, s0, v69, v7, s0
	global_store_b128 v[2:3], v[8:11], off
	global_store_b128 v[4:5], v[12:15], off
	;; [unrolled: 1-line block ×4, first 2 shown]
	s_and_b32 exec_lo, exec_lo, vcc_lo
	s_cbranch_execz .LBB0_15
; %bb.14:
	scratch_load_b64 v[16:17], off, off th:TH_LOAD_LU ; 8-byte Folded Reload
	s_mul_i32 s0, s5, 0xffffea90
	s_wait_alu 0xfffe
	s_sub_co_i32 s0, s0, s4
	s_wait_loadcnt 0x0
	global_load_b128 v[2:5], v[16:17], off offset:272
	ds_load_b128 v[6:9], v164 offset:272
	ds_load_b128 v[10:13], v164 offset:656
	s_wait_loadcnt_dscnt 0x1
	v_mul_f64_e32 v[14:15], v[8:9], v[4:5]
	v_mul_f64_e32 v[4:5], v[6:7], v[4:5]
	s_delay_alu instid0(VALU_DEP_2) | instskip(NEXT) | instid1(VALU_DEP_2)
	v_fma_f64 v[6:7], v[6:7], v[2:3], v[14:15]
	v_fma_f64 v[4:5], v[2:3], v[8:9], -v[4:5]
	s_delay_alu instid0(VALU_DEP_2) | instskip(NEXT) | instid1(VALU_DEP_2)
	v_mul_f64_e32 v[2:3], s[2:3], v[6:7]
	v_mul_f64_e32 v[4:5], s[2:3], v[4:5]
	v_mad_co_u64_u32 v[6:7], null, 0xffffea90, s4, v[0:1]
	s_wait_alu 0xfffe
	s_delay_alu instid0(VALU_DEP_1)
	v_add_nc_u32_e32 v7, s0, v7
	global_store_b128 v[6:7], v[2:5], off
	global_load_b128 v[0:3], v[16:17], off offset:656
	s_wait_loadcnt_dscnt 0x0
	v_mul_f64_e32 v[4:5], v[12:13], v[2:3]
	v_mul_f64_e32 v[2:3], v[10:11], v[2:3]
	s_delay_alu instid0(VALU_DEP_2) | instskip(NEXT) | instid1(VALU_DEP_2)
	v_fma_f64 v[4:5], v[10:11], v[0:1], v[4:5]
	v_fma_f64 v[2:3], v[0:1], v[12:13], -v[2:3]
	v_add_co_u32 v12, vcc_lo, v6, s6
	s_wait_alu 0xfffd
	v_add_co_ci_u32_e32 v13, vcc_lo, s7, v7, vcc_lo
	s_delay_alu instid0(VALU_DEP_4) | instskip(NEXT) | instid1(VALU_DEP_4)
	v_mul_f64_e32 v[0:1], s[2:3], v[4:5]
	v_mul_f64_e32 v[2:3], s[2:3], v[2:3]
	global_store_b128 v[12:13], v[0:3], off
	global_load_b128 v[0:3], v[16:17], off offset:1040
	ds_load_b128 v[4:7], v164 offset:1040
	ds_load_b128 v[8:11], v164 offset:1424
	s_wait_loadcnt_dscnt 0x1
	v_mul_f64_e32 v[14:15], v[6:7], v[2:3]
	v_mul_f64_e32 v[2:3], v[4:5], v[2:3]
	s_delay_alu instid0(VALU_DEP_2) | instskip(NEXT) | instid1(VALU_DEP_2)
	v_fma_f64 v[4:5], v[4:5], v[0:1], v[14:15]
	v_fma_f64 v[2:3], v[0:1], v[6:7], -v[2:3]
	s_delay_alu instid0(VALU_DEP_2) | instskip(NEXT) | instid1(VALU_DEP_2)
	v_mul_f64_e32 v[0:1], s[2:3], v[4:5]
	v_mul_f64_e32 v[2:3], s[2:3], v[2:3]
	v_add_co_u32 v4, vcc_lo, v12, s6
	s_wait_alu 0xfffd
	v_add_co_ci_u32_e32 v5, vcc_lo, s7, v13, vcc_lo
	s_delay_alu instid0(VALU_DEP_2) | instskip(SKIP_1) | instid1(VALU_DEP_2)
	v_add_co_u32 v12, vcc_lo, v4, s6
	s_wait_alu 0xfffd
	v_add_co_ci_u32_e32 v13, vcc_lo, s7, v5, vcc_lo
	global_store_b128 v[4:5], v[0:3], off
	global_load_b128 v[0:3], v[16:17], off offset:1424
	s_wait_loadcnt_dscnt 0x0
	v_mul_f64_e32 v[6:7], v[10:11], v[2:3]
	v_mul_f64_e32 v[2:3], v[8:9], v[2:3]
	s_delay_alu instid0(VALU_DEP_2) | instskip(NEXT) | instid1(VALU_DEP_2)
	v_fma_f64 v[6:7], v[8:9], v[0:1], v[6:7]
	v_fma_f64 v[2:3], v[0:1], v[10:11], -v[2:3]
	s_delay_alu instid0(VALU_DEP_2) | instskip(NEXT) | instid1(VALU_DEP_2)
	v_mul_f64_e32 v[0:1], s[2:3], v[6:7]
	v_mul_f64_e32 v[2:3], s[2:3], v[2:3]
	global_store_b128 v[12:13], v[0:3], off
	global_load_b128 v[0:3], v[16:17], off offset:1808
	ds_load_b128 v[4:7], v164 offset:1808
	ds_load_b128 v[8:11], v164 offset:2192
	s_wait_loadcnt_dscnt 0x1
	v_mul_f64_e32 v[14:15], v[6:7], v[2:3]
	v_mul_f64_e32 v[2:3], v[4:5], v[2:3]
	s_delay_alu instid0(VALU_DEP_2) | instskip(NEXT) | instid1(VALU_DEP_2)
	v_fma_f64 v[4:5], v[4:5], v[0:1], v[14:15]
	v_fma_f64 v[2:3], v[0:1], v[6:7], -v[2:3]
	s_delay_alu instid0(VALU_DEP_2) | instskip(NEXT) | instid1(VALU_DEP_2)
	v_mul_f64_e32 v[0:1], s[2:3], v[4:5]
	v_mul_f64_e32 v[2:3], s[2:3], v[2:3]
	v_add_co_u32 v4, vcc_lo, v12, s6
	s_wait_alu 0xfffd
	v_add_co_ci_u32_e32 v5, vcc_lo, s7, v13, vcc_lo
	s_delay_alu instid0(VALU_DEP_2) | instskip(SKIP_1) | instid1(VALU_DEP_2)
	v_add_co_u32 v12, vcc_lo, v4, s6
	s_wait_alu 0xfffd
	v_add_co_ci_u32_e32 v13, vcc_lo, s7, v5, vcc_lo
	global_store_b128 v[4:5], v[0:3], off
	global_load_b128 v[0:3], v[16:17], off offset:2192
	s_wait_loadcnt_dscnt 0x0
	v_mul_f64_e32 v[6:7], v[10:11], v[2:3]
	v_mul_f64_e32 v[2:3], v[8:9], v[2:3]
	s_delay_alu instid0(VALU_DEP_2) | instskip(NEXT) | instid1(VALU_DEP_2)
	v_fma_f64 v[6:7], v[8:9], v[0:1], v[6:7]
	v_fma_f64 v[2:3], v[0:1], v[10:11], -v[2:3]
	s_delay_alu instid0(VALU_DEP_2) | instskip(NEXT) | instid1(VALU_DEP_2)
	;; [unrolled: 31-line block ×6, first 2 shown]
	v_mul_f64_e32 v[0:1], s[2:3], v[6:7]
	v_mul_f64_e32 v[2:3], s[2:3], v[2:3]
	global_store_b128 v[12:13], v[0:3], off
	global_load_b128 v[0:3], v[16:17], off offset:5648
	ds_load_b128 v[4:7], v164 offset:5648
	ds_load_b128 v[8:11], v164 offset:6032
	s_wait_loadcnt_dscnt 0x1
	v_mul_f64_e32 v[14:15], v[6:7], v[2:3]
	v_mul_f64_e32 v[2:3], v[4:5], v[2:3]
	s_delay_alu instid0(VALU_DEP_2) | instskip(NEXT) | instid1(VALU_DEP_2)
	v_fma_f64 v[4:5], v[4:5], v[0:1], v[14:15]
	v_fma_f64 v[2:3], v[0:1], v[6:7], -v[2:3]
	s_delay_alu instid0(VALU_DEP_2) | instskip(NEXT) | instid1(VALU_DEP_2)
	v_mul_f64_e32 v[0:1], s[2:3], v[4:5]
	v_mul_f64_e32 v[2:3], s[2:3], v[2:3]
	v_add_co_u32 v4, vcc_lo, v12, s6
	s_wait_alu 0xfffd
	v_add_co_ci_u32_e32 v5, vcc_lo, s7, v13, vcc_lo
	global_store_b128 v[4:5], v[0:3], off
	global_load_b128 v[0:3], v[16:17], off offset:6032
	s_wait_loadcnt_dscnt 0x0
	v_mul_f64_e32 v[6:7], v[10:11], v[2:3]
	v_mul_f64_e32 v[2:3], v[8:9], v[2:3]
	s_delay_alu instid0(VALU_DEP_2) | instskip(NEXT) | instid1(VALU_DEP_2)
	v_fma_f64 v[6:7], v[8:9], v[0:1], v[6:7]
	v_fma_f64 v[2:3], v[0:1], v[10:11], -v[2:3]
	v_add_co_u32 v8, vcc_lo, v4, s6
	s_wait_alu 0xfffd
	v_add_co_ci_u32_e32 v9, vcc_lo, s7, v5, vcc_lo
	s_delay_alu instid0(VALU_DEP_4) | instskip(NEXT) | instid1(VALU_DEP_4)
	v_mul_f64_e32 v[0:1], s[2:3], v[6:7]
	v_mul_f64_e32 v[2:3], s[2:3], v[2:3]
	ds_load_b128 v[4:7], v164 offset:6416
	global_store_b128 v[8:9], v[0:3], off
	global_load_b128 v[0:3], v[16:17], off offset:6416
	s_wait_loadcnt_dscnt 0x0
	v_mul_f64_e32 v[10:11], v[6:7], v[2:3]
	v_mul_f64_e32 v[2:3], v[4:5], v[2:3]
	s_delay_alu instid0(VALU_DEP_2) | instskip(NEXT) | instid1(VALU_DEP_2)
	v_fma_f64 v[4:5], v[4:5], v[0:1], v[10:11]
	v_fma_f64 v[2:3], v[0:1], v[6:7], -v[2:3]
	s_delay_alu instid0(VALU_DEP_2) | instskip(NEXT) | instid1(VALU_DEP_2)
	v_mul_f64_e32 v[0:1], s[2:3], v[4:5]
	v_mul_f64_e32 v[2:3], s[2:3], v[2:3]
	v_add_co_u32 v4, vcc_lo, v8, s6
	s_wait_alu 0xfffd
	v_add_co_ci_u32_e32 v5, vcc_lo, s7, v9, vcc_lo
	global_store_b128 v[4:5], v[0:3], off
.LBB0_15:
	s_nop 0
	s_sendmsg sendmsg(MSG_DEALLOC_VGPRS)
	s_endpgm
	.section	.rodata,"a",@progbits
	.p2align	6, 0x0
	.amdhsa_kernel bluestein_single_fwd_len408_dim1_dp_op_CI_CI
		.amdhsa_group_segment_fixed_size 19584
		.amdhsa_private_segment_fixed_size 1232
		.amdhsa_kernarg_size 104
		.amdhsa_user_sgpr_count 2
		.amdhsa_user_sgpr_dispatch_ptr 0
		.amdhsa_user_sgpr_queue_ptr 0
		.amdhsa_user_sgpr_kernarg_segment_ptr 1
		.amdhsa_user_sgpr_dispatch_id 0
		.amdhsa_user_sgpr_private_segment_size 0
		.amdhsa_wavefront_size32 1
		.amdhsa_uses_dynamic_stack 0
		.amdhsa_enable_private_segment 1
		.amdhsa_system_sgpr_workgroup_id_x 1
		.amdhsa_system_sgpr_workgroup_id_y 0
		.amdhsa_system_sgpr_workgroup_id_z 0
		.amdhsa_system_sgpr_workgroup_info 0
		.amdhsa_system_vgpr_workitem_id 0
		.amdhsa_next_free_vgpr 256
		.amdhsa_next_free_sgpr 60
		.amdhsa_reserve_vcc 1
		.amdhsa_float_round_mode_32 0
		.amdhsa_float_round_mode_16_64 0
		.amdhsa_float_denorm_mode_32 3
		.amdhsa_float_denorm_mode_16_64 3
		.amdhsa_fp16_overflow 0
		.amdhsa_workgroup_processor_mode 1
		.amdhsa_memory_ordered 1
		.amdhsa_forward_progress 0
		.amdhsa_round_robin_scheduling 0
		.amdhsa_exception_fp_ieee_invalid_op 0
		.amdhsa_exception_fp_denorm_src 0
		.amdhsa_exception_fp_ieee_div_zero 0
		.amdhsa_exception_fp_ieee_overflow 0
		.amdhsa_exception_fp_ieee_underflow 0
		.amdhsa_exception_fp_ieee_inexact 0
		.amdhsa_exception_int_div_zero 0
	.end_amdhsa_kernel
	.text
.Lfunc_end0:
	.size	bluestein_single_fwd_len408_dim1_dp_op_CI_CI, .Lfunc_end0-bluestein_single_fwd_len408_dim1_dp_op_CI_CI
                                        ; -- End function
	.section	.AMDGPU.csdata,"",@progbits
; Kernel info:
; codeLenInByte = 42544
; NumSgprs: 62
; NumVgprs: 256
; ScratchSize: 1232
; MemoryBound: 0
; FloatMode: 240
; IeeeMode: 1
; LDSByteSize: 19584 bytes/workgroup (compile time only)
; SGPRBlocks: 7
; VGPRBlocks: 31
; NumSGPRsForWavesPerEU: 62
; NumVGPRsForWavesPerEU: 256
; Occupancy: 3
; WaveLimiterHint : 1
; COMPUTE_PGM_RSRC2:SCRATCH_EN: 1
; COMPUTE_PGM_RSRC2:USER_SGPR: 2
; COMPUTE_PGM_RSRC2:TRAP_HANDLER: 0
; COMPUTE_PGM_RSRC2:TGID_X_EN: 1
; COMPUTE_PGM_RSRC2:TGID_Y_EN: 0
; COMPUTE_PGM_RSRC2:TGID_Z_EN: 0
; COMPUTE_PGM_RSRC2:TIDIG_COMP_CNT: 0
	.text
	.p2alignl 7, 3214868480
	.fill 96, 4, 3214868480
	.type	__hip_cuid_7f5c44f7827a213a,@object ; @__hip_cuid_7f5c44f7827a213a
	.section	.bss,"aw",@nobits
	.globl	__hip_cuid_7f5c44f7827a213a
__hip_cuid_7f5c44f7827a213a:
	.byte	0                               ; 0x0
	.size	__hip_cuid_7f5c44f7827a213a, 1

	.ident	"AMD clang version 19.0.0git (https://github.com/RadeonOpenCompute/llvm-project roc-6.4.0 25133 c7fe45cf4b819c5991fe208aaa96edf142730f1d)"
	.section	".note.GNU-stack","",@progbits
	.addrsig
	.addrsig_sym __hip_cuid_7f5c44f7827a213a
	.amdgpu_metadata
---
amdhsa.kernels:
  - .args:
      - .actual_access:  read_only
        .address_space:  global
        .offset:         0
        .size:           8
        .value_kind:     global_buffer
      - .actual_access:  read_only
        .address_space:  global
        .offset:         8
        .size:           8
        .value_kind:     global_buffer
      - .actual_access:  read_only
        .address_space:  global
        .offset:         16
        .size:           8
        .value_kind:     global_buffer
      - .actual_access:  read_only
        .address_space:  global
        .offset:         24
        .size:           8
        .value_kind:     global_buffer
      - .actual_access:  read_only
        .address_space:  global
        .offset:         32
        .size:           8
        .value_kind:     global_buffer
      - .offset:         40
        .size:           8
        .value_kind:     by_value
      - .address_space:  global
        .offset:         48
        .size:           8
        .value_kind:     global_buffer
      - .address_space:  global
        .offset:         56
        .size:           8
        .value_kind:     global_buffer
      - .address_space:  global
        .offset:         64
        .size:           8
        .value_kind:     global_buffer
      - .address_space:  global
        .offset:         72
        .size:           8
        .value_kind:     global_buffer
      - .offset:         80
        .size:           4
        .value_kind:     by_value
      - .address_space:  global
        .offset:         88
        .size:           8
        .value_kind:     global_buffer
      - .address_space:  global
        .offset:         96
        .size:           8
        .value_kind:     global_buffer
    .group_segment_fixed_size: 19584
    .kernarg_segment_align: 8
    .kernarg_segment_size: 104
    .language:       OpenCL C
    .language_version:
      - 2
      - 0
    .max_flat_workgroup_size: 51
    .name:           bluestein_single_fwd_len408_dim1_dp_op_CI_CI
    .private_segment_fixed_size: 1232
    .sgpr_count:     62
    .sgpr_spill_count: 0
    .symbol:         bluestein_single_fwd_len408_dim1_dp_op_CI_CI.kd
    .uniform_work_group_size: 1
    .uses_dynamic_stack: false
    .vgpr_count:     256
    .vgpr_spill_count: 452
    .wavefront_size: 32
    .workgroup_processor_mode: 1
amdhsa.target:   amdgcn-amd-amdhsa--gfx1201
amdhsa.version:
  - 1
  - 2
...

	.end_amdgpu_metadata
